;; amdgpu-corpus repo=triton-lang/triton kind=triton arch=gfx1100 opt=O3 lang=triton
	.amdgcn_target "amdgcn-amd-amdhsa--gfx1100"
	.amdhsa_code_object_version 5
	.text
	.globl	matmul_kernel                   ; -- Begin function matmul_kernel
	.p2align	8
	.type	matmul_kernel,@function
matmul_kernel:                          ; @matmul_kernel
.Lfunc_begin0:
	.file	1 "/root/src/amdgpu-assembly/repos/triton-lang__triton-aot" "matmul.py"
	.loc	1 7 0                           ; matmul.py:7:0
	.cfi_sections .debug_frame
	.cfi_startproc
; %bb.0:
	s_load_b128 s[16:19], s[0:1], 0x18
.Ltmp0:
	.loc	1 16 22 prologue_end            ; matmul.py:16:22
	s_abs_i32 s5, s15
	v_dual_mov_b32 v10, 0 :: v_dual_and_b32 v163, 31, v0
	v_mov_b32_e32 v9, 0
.Ltmp1:
	.file	2 "/root/.local/lib/python3.13/site-packages/triton/language" "standard.py"
	.loc	2 43 17                         ; standard.py:43:17 @[ matmul.py:14:27 ]
	s_waitcnt lgkmcnt(0)
	s_add_i32 s2, s17, 63
.Ltmp2:
	.loc	2 43 17 is_stmt 0               ; standard.py:43:17 @[ matmul.py:13:27 ]
	s_add_i32 s6, s16, 63
.Ltmp3:
	.loc	2 43 30                         ; standard.py:43:30 @[ matmul.py:14:27 ]
	s_ashr_i32 s3, s2, 31
.Ltmp4:
	.loc	2 43 30                         ; standard.py:43:30 @[ matmul.py:13:27 ]
	s_ashr_i32 s8, s6, 31
.Ltmp5:
	.loc	2 43 30                         ; standard.py:43:30 @[ matmul.py:14:27 ]
	s_lshr_b32 s3, s3, 26
.Ltmp6:
	.loc	2 43 30                         ; standard.py:43:30 @[ matmul.py:13:27 ]
	s_lshr_b32 s8, s8, 26
.Ltmp7:
	.loc	2 43 30                         ; standard.py:43:30 @[ matmul.py:14:27 ]
	s_add_i32 s2, s2, s3
.Ltmp8:
	.loc	2 43 30                         ; standard.py:43:30 @[ matmul.py:13:27 ]
	s_add_i32 s6, s6, s8
.Ltmp9:
	.loc	2 43 30                         ; standard.py:43:30 @[ matmul.py:14:27 ]
	s_ashr_i32 s2, s2, 6
.Ltmp10:
	.loc	2 43 30                         ; standard.py:43:30 @[ matmul.py:13:27 ]
	s_ashr_i32 s6, s6, 6
.Ltmp11:
	.loc	1 15 38 is_stmt 1               ; matmul.py:15:38
	s_lshl_b32 s2, s2, 3
	s_delay_alu instid0(SALU_CYCLE_1) | instskip(NEXT) | instid1(SALU_CYCLE_1)
	.loc	1 16 22                         ; matmul.py:16:22
	s_abs_i32 s3, s2
	v_cvt_f32_u32_e32 v1, s3
	s_sub_i32 s7, 0, s3
	s_delay_alu instid0(VALU_DEP_1) | instskip(SKIP_2) | instid1(VALU_DEP_1)
	v_rcp_iflag_f32_e32 v1, v1
	s_waitcnt_depctr depctr_va_vdst(0)
	v_mul_f32_e32 v1, 0x4f7ffffe, v1
	v_cvt_u32_f32_e32 v1, v1
	s_delay_alu instid0(VALU_DEP_1) | instskip(SKIP_1) | instid1(SALU_CYCLE_1)
	v_readfirstlane_b32 s4, v1
	s_mul_i32 s7, s7, s4
	s_mul_hi_u32 s7, s4, s7
	s_delay_alu instid0(SALU_CYCLE_1) | instskip(SKIP_4) | instid1(SALU_CYCLE_1)
	s_add_i32 s4, s4, s7
	s_xor_b32 s7, s15, s2
	s_mul_hi_u32 s4, s5, s4
	s_ashr_i32 s7, s7, 31
	s_mul_i32 s8, s4, s3
	s_sub_i32 s5, s5, s8
	s_add_i32 s8, s4, 1
	s_sub_i32 s9, s5, s3
	s_cmp_ge_u32 s5, s3
	s_cselect_b32 s4, s8, s4
	s_cselect_b32 s5, s9, s5
	s_add_i32 s8, s4, 1
	s_cmp_ge_u32 s5, s3
	s_cselect_b32 s3, s8, s4
	.loc	1 22 68                         ; matmul.py:22:68
	s_abs_i32 s8, s16
	.loc	1 16 22                         ; matmul.py:16:22
	s_xor_b32 s3, s3, s7
.Ltmp12:
	.loc	2 43 17                         ; standard.py:43:17 @[ matmul.py:29:33 ]
	s_add_i32 s13, s18, 31
.Ltmp13:
	.loc	1 16 22                         ; matmul.py:16:22
	s_sub_i32 s3, s3, s7
	s_delay_alu instid0(SALU_CYCLE_1)
	.loc	1 17 29                         ; matmul.py:17:29
	s_lshl_b32 s4, s3, 3
	.loc	1 19 34                         ; matmul.py:19:34
	s_mul_i32 s3, s3, s2
	.loc	1 18 35                         ; matmul.py:18:35
	s_sub_i32 s5, s6, s4
	.loc	1 19 34                         ; matmul.py:19:34
	s_sub_i32 s2, s15, s3
	.loc	1 18 48                         ; matmul.py:18:48
	s_min_i32 s5, s5, 8
	.loc	1 20 40                         ; matmul.py:20:40
	s_abs_i32 s3, s2
	s_abs_i32 s6, s5
	s_delay_alu instid0(SALU_CYCLE_1) | instskip(SKIP_1) | instid1(VALU_DEP_1)
	v_cvt_f32_u32_e32 v1, s6
	s_sub_i32 s7, 0, s6
	v_rcp_iflag_f32_e32 v1, v1
	s_waitcnt_depctr depctr_va_vdst(0)
	v_mul_f32_e32 v1, 0x4f7ffffe, v1
	s_delay_alu instid0(VALU_DEP_1) | instskip(NEXT) | instid1(VALU_DEP_1)
	v_cvt_u32_f32_e32 v1, v1
	v_mul_lo_u32 v2, s7, v1
	s_delay_alu instid0(VALU_DEP_1) | instskip(NEXT) | instid1(VALU_DEP_1)
	v_mul_hi_u32 v2, v1, v2
	v_add_nc_u32_e32 v1, v1, v2
	s_delay_alu instid0(VALU_DEP_1) | instskip(NEXT) | instid1(VALU_DEP_1)
	v_mul_hi_u32 v1, s3, v1
	v_mul_lo_u32 v2, v1, s6
	v_add_nc_u32_e32 v3, 1, v1
	s_delay_alu instid0(VALU_DEP_2) | instskip(SKIP_1) | instid1(SALU_CYCLE_1)
	v_sub_nc_u32_e32 v2, s3, v2
	s_xor_b32 s3, s2, s5
	s_ashr_i32 s3, s3, 31
	s_delay_alu instid0(VALU_DEP_1) | instskip(SKIP_1) | instid1(VALU_DEP_2)
	v_subrev_nc_u32_e32 v4, s6, v2
	v_cmp_le_u32_e32 vcc_lo, s6, v2
	v_dual_cndmask_b32 v1, v1, v3 :: v_dual_cndmask_b32 v2, v2, v4
	.loc	1 22 51                         ; matmul.py:22:51
	v_lshrrev_b32_e32 v4, 5, v0
	s_delay_alu instid0(VALU_DEP_2) | instskip(NEXT) | instid1(VALU_DEP_3)
	.loc	1 20 40                         ; matmul.py:20:40
	v_add_nc_u32_e32 v3, 1, v1
	v_cmp_le_u32_e32 vcc_lo, s6, v2
	.loc	1 22 68                         ; matmul.py:22:68
	v_cvt_f32_u32_e32 v2, s8
	s_delay_alu instid0(VALU_DEP_3) | instskip(NEXT) | instid1(VALU_DEP_1)
	.loc	1 20 40                         ; matmul.py:20:40
	v_cndmask_b32_e32 v1, v1, v3, vcc_lo
	v_xor_b32_e32 v1, s3, v1
	s_delay_alu instid0(VALU_DEP_1) | instskip(NEXT) | instid1(VALU_DEP_4)
	v_subrev_nc_u32_e32 v19, s3, v1
	.loc	1 22 68                         ; matmul.py:22:68
	v_rcp_iflag_f32_e32 v1, v2
	s_load_b32 s3, s[0:1], 0x28
	s_delay_alu instid0(VALU_DEP_1) | instskip(NEXT) | instid1(VALU_DEP_1)
	.loc	1 19 54                         ; matmul.py:19:54
	v_mul_lo_u32 v2, v19, s5
	v_sub_nc_u32_e32 v2, s2, v2
	.loc	1 22 68                         ; matmul.py:22:68
	s_sub_i32 s2, 0, s8
	.loc	1 29 22                         ; matmul.py:29:22
	s_cmp_gt_i32 s13, 31
	s_cselect_b32 s12, -1, 0
	s_delay_alu instid0(VALU_DEP_1) | instskip(SKIP_1) | instid1(VALU_DEP_1)
	.loc	1 19 27                         ; matmul.py:19:27
	v_add_nc_u32_e32 v2, s4, v2
	s_load_b64 s[4:5], s[0:1], 0x0
	.loc	1 22 23                         ; matmul.py:22:23
	v_lshlrev_b32_e32 v161, 6, v2
	.loc	1 22 68 is_stmt 0               ; matmul.py:22:68
	v_bfe_i32 v21, v2, 25, 1
	s_delay_alu instid0(VALU_DEP_2) | instskip(NEXT) | instid1(VALU_DEP_1)
	.loc	1 22 51                         ; matmul.py:22:51
	v_or_b32_e32 v2, v161, v4
	.loc	1 22 68                         ; matmul.py:22:68
	v_add_nc_u32_e32 v20, v2, v21
	s_delay_alu instid0(VALU_DEP_1) | instskip(NEXT) | instid1(VALU_DEP_1)
	v_dual_mul_f32 v1, 0x4f7ffffe, v1 :: v_dual_add_nc_u32 v6, 16, v20
	v_cvt_u32_f32_e32 v1, v1
	v_add_nc_u32_e32 v5, 12, v20
	v_add_nc_u32_e32 v7, 20, v20
	s_delay_alu instid0(VALU_DEP_4) | instskip(NEXT) | instid1(VALU_DEP_4)
	v_xor_b32_e32 v13, v6, v21
	v_mul_lo_u32 v3, s2, v1
	s_delay_alu instid0(VALU_DEP_4) | instskip(NEXT) | instid1(VALU_DEP_2)
	v_xor_b32_e32 v16, v5, v21
	v_mul_hi_u32 v3, v1, v3
	s_delay_alu instid0(VALU_DEP_1) | instskip(SKIP_1) | instid1(VALU_DEP_1)
	v_add_nc_u32_e32 v22, v1, v3
	v_xor_b32_e32 v1, v20, v21
	v_mul_hi_u32 v2, v1, v22
	s_delay_alu instid0(VALU_DEP_1) | instskip(NEXT) | instid1(VALU_DEP_1)
	v_mul_lo_u32 v2, v2, s8
	v_sub_nc_u32_e32 v1, v1, v2
	s_delay_alu instid0(VALU_DEP_1) | instskip(SKIP_1) | instid1(VALU_DEP_2)
	v_subrev_nc_u32_e32 v2, s8, v1
	v_cmp_le_u32_e32 vcc_lo, s8, v1
	v_cndmask_b32_e32 v1, v1, v2, vcc_lo
	s_delay_alu instid0(VALU_DEP_1) | instskip(SKIP_1) | instid1(VALU_DEP_2)
	v_subrev_nc_u32_e32 v2, s8, v1
	v_cmp_le_u32_e32 vcc_lo, s8, v1
	v_cndmask_b32_e32 v1, v1, v2, vcc_lo
	.loc	1 30 51 is_stmt 1               ; matmul.py:30:51
	v_cmp_gt_i32_e32 vcc_lo, s18, v163
	s_delay_alu instid0(VALU_DEP_2) | instskip(SKIP_2) | instid1(VALU_DEP_2)
	.loc	1 22 68                         ; matmul.py:22:68
	v_xor_b32_e32 v2, v1, v21
	.loc	1 25 71                         ; matmul.py:25:71
	s_waitcnt lgkmcnt(0)
	v_mul_lo_u32 v1, s3, v163
	.loc	1 22 68                         ; matmul.py:22:68
	v_sub_nc_u32_e32 v4, v2, v21
	s_delay_alu instid0(VALU_DEP_1) | instskip(SKIP_2) | instid1(VALU_DEP_2)
	.loc	1 25 53                         ; matmul.py:25:53
	v_mad_u64_u32 v[2:3], null, v4, s19, v[1:2]
	.loc	1 22 68                         ; matmul.py:22:68
	v_add_nc_u32_e32 v3, 4, v20
	v_add_nc_u32_e32 v4, 8, v20
	v_xor_b32_e32 v8, v3, v21
	s_delay_alu instid0(VALU_DEP_4) | instskip(NEXT) | instid1(VALU_DEP_3)
	.loc	1 25 22                         ; matmul.py:25:22
	v_ashrrev_i32_e32 v3, 31, v2
	.loc	1 22 68                         ; matmul.py:22:68
	v_xor_b32_e32 v11, v4, v21
	s_delay_alu instid0(VALU_DEP_3) | instskip(NEXT) | instid1(VALU_DEP_3)
	v_mad_u64_u32 v[5:6], null, v8, v22, 0
	.loc	1 25 22                         ; matmul.py:25:22
	v_lshlrev_b64 v[65:66], 1, v[2:3]
	s_delay_alu instid0(VALU_DEP_3) | instskip(SKIP_1) | instid1(VALU_DEP_3)
	.loc	1 22 68                         ; matmul.py:22:68
	v_mad_u64_u32 v[2:3], null, v11, v22, 0
	v_mad_u64_u32 v[4:5], null, v16, v22, 0
	.loc	1 25 22                         ; matmul.py:25:22
	v_add_co_u32 v33, s2, s4, v65
	s_delay_alu instid0(VALU_DEP_1) | instskip(SKIP_1) | instid1(SALU_CYCLE_1)
	v_add_co_ci_u32_e64 v34, null, s5, v66, s2
	.loc	1 29 22                         ; matmul.py:29:22
	s_and_b32 s2, vcc_lo, s12
	.loc	1 30 20                         ; matmul.py:30:20
	s_and_saveexec_b32 s6, s2
	s_cbranch_execz .LBB0_2
; %bb.1:
	global_load_u16 v10, v[33:34], off
.LBB0_2:
	.loc	1 0 20 is_stmt 0                ; matmul.py:0:20
	s_or_b32 exec_lo, exec_lo, s6
	.loc	1 22 68 is_stmt 1               ; matmul.py:22:68
	v_mul_lo_u32 v2, v6, s8
	s_delay_alu instid0(VALU_DEP_1) | instskip(NEXT) | instid1(VALU_DEP_1)
	v_sub_nc_u32_e32 v2, v8, v2
	v_subrev_nc_u32_e32 v4, s8, v2
	v_cmp_le_u32_e32 vcc_lo, s8, v2
	s_delay_alu instid0(VALU_DEP_2) | instskip(NEXT) | instid1(VALU_DEP_1)
	v_cndmask_b32_e32 v2, v2, v4, vcc_lo
	v_subrev_nc_u32_e32 v4, s8, v2
	v_cmp_le_u32_e32 vcc_lo, s8, v2
	s_delay_alu instid0(VALU_DEP_2) | instskip(SKIP_1) | instid1(VALU_DEP_2)
	v_cndmask_b32_e32 v2, v2, v4, vcc_lo
	.loc	1 0 0 is_stmt 0                 ; matmul.py:0
	v_add_nc_u32_e32 v4, 24, v20
	.loc	1 22 68                         ; matmul.py:22:68
	v_xor_b32_e32 v2, v2, v21
	s_delay_alu instid0(VALU_DEP_1) | instskip(NEXT) | instid1(VALU_DEP_1)
	v_sub_nc_u32_e32 v2, v2, v21
	.loc	1 25 53 is_stmt 1               ; matmul.py:25:53
	v_mad_u64_u32 v[14:15], null, v2, s19, v[1:2]
	s_delay_alu instid0(VALU_DEP_1) | instskip(NEXT) | instid1(VALU_DEP_1)
	.loc	1 25 22 is_stmt 0               ; matmul.py:25:22
	v_ashrrev_i32_e32 v15, 31, v14
	v_lshlrev_b64 v[67:68], 1, v[14:15]
	.loc	1 0 0                           ; matmul.py:0
	v_xor_b32_e32 v15, v7, v21
	v_mad_u64_u32 v[7:8], null, v13, v22, 0
	s_delay_alu instid0(VALU_DEP_3) | instskip(NEXT) | instid1(VALU_DEP_1)
	.loc	1 25 22                         ; matmul.py:25:22
	v_add_co_u32 v35, vcc_lo, s4, v67
	v_add_co_ci_u32_e64 v36, null, s5, v68, vcc_lo
	.loc	1 30 20 is_stmt 1               ; matmul.py:30:20
	s_and_saveexec_b32 s6, s2
	s_cbranch_execz .LBB0_4
; %bb.3:
	global_load_u16 v9, v[35:36], off
.LBB0_4:
	.loc	1 0 20 is_stmt 0                ; matmul.py:0:20
	s_or_b32 exec_lo, exec_lo, s6
	.loc	1 22 68 is_stmt 1               ; matmul.py:22:68
	v_mul_lo_u32 v2, v3, s8
	.loc	1 0 0 is_stmt 0                 ; matmul.py:0
	v_xor_b32_e32 v14, v4, v21
	v_mov_b32_e32 v12, 0
	s_delay_alu instid0(VALU_DEP_3) | instskip(SKIP_1) | instid1(VALU_DEP_2)
	.loc	1 22 68                         ; matmul.py:22:68
	v_sub_nc_u32_e32 v2, v11, v2
	v_mov_b32_e32 v11, 0
	v_subrev_nc_u32_e32 v3, s8, v2
	v_cmp_le_u32_e32 vcc_lo, s8, v2
	s_delay_alu instid0(VALU_DEP_2) | instskip(NEXT) | instid1(VALU_DEP_1)
	v_cndmask_b32_e32 v2, v2, v3, vcc_lo
	v_subrev_nc_u32_e32 v3, s8, v2
	v_cmp_le_u32_e32 vcc_lo, s8, v2
	s_delay_alu instid0(VALU_DEP_2) | instskip(SKIP_1) | instid1(VALU_DEP_2)
	v_cndmask_b32_e32 v2, v2, v3, vcc_lo
	.loc	1 0 0                           ; matmul.py:0
	v_mad_u64_u32 v[3:4], null, v15, v22, 0
	.loc	1 22 68                         ; matmul.py:22:68
	v_xor_b32_e32 v2, v2, v21
	s_delay_alu instid0(VALU_DEP_1) | instskip(NEXT) | instid1(VALU_DEP_1)
	v_sub_nc_u32_e32 v2, v2, v21
	.loc	1 25 53 is_stmt 1               ; matmul.py:25:53
	v_mad_u64_u32 v[6:7], null, v2, s19, v[1:2]
	.loc	1 0 0 is_stmt 0                 ; matmul.py:0
	v_add_nc_u32_e32 v2, 28, v20
	s_delay_alu instid0(VALU_DEP_2) | instskip(NEXT) | instid1(VALU_DEP_1)
	.loc	1 25 22                         ; matmul.py:25:22
	v_ashrrev_i32_e32 v7, 31, v6
	v_lshlrev_b64 v[69:70], 1, v[6:7]
	s_delay_alu instid0(VALU_DEP_1) | instskip(NEXT) | instid1(VALU_DEP_1)
	v_add_co_u32 v37, vcc_lo, s4, v69
	v_add_co_ci_u32_e64 v38, null, s5, v70, vcc_lo
	.loc	1 30 20 is_stmt 1               ; matmul.py:30:20
	s_and_saveexec_b32 s6, s2
	s_cbranch_execz .LBB0_6
; %bb.5:
	global_load_u16 v12, v[37:38], off
.LBB0_6:
	.loc	1 0 20 is_stmt 0                ; matmul.py:0:20
	s_or_b32 exec_lo, exec_lo, s6
	.loc	1 22 68 is_stmt 1               ; matmul.py:22:68
	v_mul_lo_u32 v3, v5, s8
	.loc	1 0 0 is_stmt 0                 ; matmul.py:0
	v_xor_b32_e32 v17, v2, v21
	s_delay_alu instid0(VALU_DEP_2) | instskip(NEXT) | instid1(VALU_DEP_1)
	.loc	1 22 68                         ; matmul.py:22:68
	v_sub_nc_u32_e32 v3, v16, v3
	v_subrev_nc_u32_e32 v5, s8, v3
	v_cmp_le_u32_e32 vcc_lo, s8, v3
	s_delay_alu instid0(VALU_DEP_2) | instskip(NEXT) | instid1(VALU_DEP_1)
	v_cndmask_b32_e32 v3, v3, v5, vcc_lo
	v_subrev_nc_u32_e32 v5, s8, v3
	v_cmp_le_u32_e32 vcc_lo, s8, v3
	s_delay_alu instid0(VALU_DEP_2) | instskip(NEXT) | instid1(VALU_DEP_1)
	v_cndmask_b32_e32 v3, v3, v5, vcc_lo
	v_xor_b32_e32 v3, v3, v21
	s_delay_alu instid0(VALU_DEP_1) | instskip(NEXT) | instid1(VALU_DEP_1)
	v_sub_nc_u32_e32 v3, v3, v21
	.loc	1 25 53 is_stmt 1               ; matmul.py:25:53
	v_mad_u64_u32 v[5:6], null, v3, s19, v[1:2]
	.loc	1 0 0 is_stmt 0                 ; matmul.py:0
	v_add_nc_u32_e32 v3, 32, v20
	s_delay_alu instid0(VALU_DEP_2) | instskip(NEXT) | instid1(VALU_DEP_1)
	.loc	1 25 22                         ; matmul.py:25:22
	v_ashrrev_i32_e32 v6, 31, v5
	v_lshlrev_b64 v[71:72], 1, v[5:6]
	.loc	1 0 0                           ; matmul.py:0
	v_mad_u64_u32 v[6:7], null, v14, v22, 0
	s_delay_alu instid0(VALU_DEP_2) | instskip(NEXT) | instid1(VALU_DEP_1)
	.loc	1 25 22                         ; matmul.py:25:22
	v_add_co_u32 v39, vcc_lo, s4, v71
	v_add_co_ci_u32_e64 v40, null, s5, v72, vcc_lo
	.loc	1 30 20 is_stmt 1               ; matmul.py:30:20
	s_and_saveexec_b32 s6, s2
	s_cbranch_execz .LBB0_8
; %bb.7:
	global_load_u16 v11, v[39:40], off
.LBB0_8:
	.loc	1 0 20 is_stmt 0                ; matmul.py:0:20
	s_or_b32 exec_lo, exec_lo, s6
	.loc	1 22 68 is_stmt 1               ; matmul.py:22:68
	v_mul_lo_u32 v2, v8, s8
	.loc	1 0 0 is_stmt 0                 ; matmul.py:0
	v_xor_b32_e32 v16, v3, v21
	v_mov_b32_e32 v8, 0
	s_delay_alu instid0(VALU_DEP_3) | instskip(SKIP_1) | instid1(VALU_DEP_2)
	.loc	1 22 68                         ; matmul.py:22:68
	v_sub_nc_u32_e32 v2, v13, v2
	v_mov_b32_e32 v13, 0
	v_subrev_nc_u32_e32 v5, s8, v2
	v_cmp_le_u32_e32 vcc_lo, s8, v2
	s_delay_alu instid0(VALU_DEP_2) | instskip(NEXT) | instid1(VALU_DEP_1)
	v_cndmask_b32_e32 v2, v2, v5, vcc_lo
	v_subrev_nc_u32_e32 v5, s8, v2
	v_cmp_le_u32_e32 vcc_lo, s8, v2
	s_delay_alu instid0(VALU_DEP_2) | instskip(NEXT) | instid1(VALU_DEP_1)
	v_dual_cndmask_b32 v2, v2, v5 :: v_dual_add_nc_u32 v5, 36, v20
	v_xor_b32_e32 v2, v2, v21
	s_delay_alu instid0(VALU_DEP_1) | instskip(NEXT) | instid1(VALU_DEP_1)
	v_sub_nc_u32_e32 v2, v2, v21
	.loc	1 25 53 is_stmt 1               ; matmul.py:25:53
	v_mad_u64_u32 v[23:24], null, v2, s19, v[1:2]
	.loc	1 0 0 is_stmt 0                 ; matmul.py:0
	v_mad_u64_u32 v[2:3], null, v17, v22, 0
	s_delay_alu instid0(VALU_DEP_2) | instskip(NEXT) | instid1(VALU_DEP_1)
	.loc	1 25 22                         ; matmul.py:25:22
	v_ashrrev_i32_e32 v24, 31, v23
	v_lshlrev_b64 v[73:74], 1, v[23:24]
	s_delay_alu instid0(VALU_DEP_1) | instskip(NEXT) | instid1(VALU_DEP_1)
	v_add_co_u32 v41, vcc_lo, s4, v73
	v_add_co_ci_u32_e64 v42, null, s5, v74, vcc_lo
	.loc	1 30 20 is_stmt 1               ; matmul.py:30:20
	s_and_saveexec_b32 s6, s2
	s_cbranch_execz .LBB0_10
; %bb.9:
	global_load_u16 v13, v[41:42], off
.LBB0_10:
	.loc	1 0 20 is_stmt 0                ; matmul.py:0:20
	s_or_b32 exec_lo, exec_lo, s6
	.loc	1 22 68 is_stmt 1               ; matmul.py:22:68
	v_mul_lo_u32 v2, v4, s8
	.loc	1 0 0 is_stmt 0                 ; matmul.py:0
	v_xor_b32_e32 v18, v5, v21
	v_mad_u64_u32 v[5:6], null, v16, v22, 0
	s_abs_i32 s10, s17
	.loc	1 22 68                         ; matmul.py:22:68
	v_sub_nc_u32_e32 v2, v15, v2
	s_delay_alu instid0(VALU_DEP_1) | instskip(SKIP_1) | instid1(VALU_DEP_2)
	v_subrev_nc_u32_e32 v4, s8, v2
	v_cmp_le_u32_e32 vcc_lo, s8, v2
	v_cndmask_b32_e32 v2, v2, v4, vcc_lo
	s_delay_alu instid0(VALU_DEP_1) | instskip(SKIP_1) | instid1(VALU_DEP_2)
	v_subrev_nc_u32_e32 v4, s8, v2
	v_cmp_le_u32_e32 vcc_lo, s8, v2
	v_cndmask_b32_e32 v2, v2, v4, vcc_lo
	.loc	1 0 0                           ; matmul.py:0
	v_add_nc_u32_e32 v4, 40, v20
	s_delay_alu instid0(VALU_DEP_2) | instskip(NEXT) | instid1(VALU_DEP_1)
	.loc	1 22 68                         ; matmul.py:22:68
	v_xor_b32_e32 v2, v2, v21
	v_sub_nc_u32_e32 v2, v2, v21
	s_delay_alu instid0(VALU_DEP_1) | instskip(NEXT) | instid1(VALU_DEP_1)
	.loc	1 25 53 is_stmt 1               ; matmul.py:25:53
	v_mad_u64_u32 v[23:24], null, v2, s19, v[1:2]
	.loc	1 25 22 is_stmt 0               ; matmul.py:25:22
	v_ashrrev_i32_e32 v24, 31, v23
	s_delay_alu instid0(VALU_DEP_1) | instskip(NEXT) | instid1(VALU_DEP_1)
	v_lshlrev_b64 v[75:76], 1, v[23:24]
	v_add_co_u32 v43, vcc_lo, s4, v75
	s_delay_alu instid0(VALU_DEP_1)
	v_add_co_ci_u32_e64 v44, null, s5, v76, vcc_lo
	.loc	1 30 20 is_stmt 1               ; matmul.py:30:20
	s_and_saveexec_b32 s6, s2
	s_cbranch_execz .LBB0_12
; %bb.11:
	global_load_u16 v8, v[43:44], off
.LBB0_12:
	.loc	1 0 20 is_stmt 0                ; matmul.py:0:20
	s_or_b32 exec_lo, exec_lo, s6
	.loc	1 22 68 is_stmt 1               ; matmul.py:22:68
	v_mul_lo_u32 v2, v7, s8
	.loc	1 0 0 is_stmt 0                 ; matmul.py:0
	v_xor_b32_e32 v23, v4, v21
	v_cvt_f32_u32_e32 v7, s10
	s_delay_alu instid0(VALU_DEP_3) | instskip(NEXT) | instid1(VALU_DEP_1)
	.loc	1 22 68                         ; matmul.py:22:68
	v_sub_nc_u32_e32 v2, v14, v2
	v_subrev_nc_u32_e32 v5, s8, v2
	v_cmp_le_u32_e32 vcc_lo, s8, v2
	s_delay_alu instid0(VALU_DEP_2) | instskip(NEXT) | instid1(VALU_DEP_1)
	v_cndmask_b32_e32 v2, v2, v5, vcc_lo
	v_subrev_nc_u32_e32 v5, s8, v2
	v_cmp_le_u32_e32 vcc_lo, s8, v2
	s_delay_alu instid0(VALU_DEP_2) | instskip(SKIP_1) | instid1(VALU_DEP_2)
	v_cndmask_b32_e32 v2, v2, v5, vcc_lo
	.loc	1 0 0                           ; matmul.py:0
	v_mad_u64_u32 v[4:5], null, v18, v22, 0
	.loc	1 22 68                         ; matmul.py:22:68
	v_xor_b32_e32 v2, v2, v21
	s_delay_alu instid0(VALU_DEP_1) | instskip(NEXT) | instid1(VALU_DEP_1)
	v_sub_nc_u32_e32 v2, v2, v21
	.loc	1 25 53 is_stmt 1               ; matmul.py:25:53
	v_mad_u64_u32 v[14:15], null, v2, s19, v[1:2]
	.loc	1 0 0 is_stmt 0                 ; matmul.py:0
	v_add_nc_u32_e32 v2, 44, v20
	s_delay_alu instid0(VALU_DEP_2) | instskip(NEXT) | instid1(VALU_DEP_1)
	.loc	1 25 22                         ; matmul.py:25:22
	v_ashrrev_i32_e32 v15, 31, v14
	v_lshlrev_b64 v[77:78], 1, v[14:15]
	v_dual_mov_b32 v14, 0 :: v_dual_mov_b32 v15, 0
	s_delay_alu instid0(VALU_DEP_2) | instskip(NEXT) | instid1(VALU_DEP_1)
	v_add_co_u32 v45, vcc_lo, s4, v77
	v_add_co_ci_u32_e64 v46, null, s5, v78, vcc_lo
	.loc	1 30 20 is_stmt 1               ; matmul.py:30:20
	s_and_saveexec_b32 s6, s2
	s_cbranch_execz .LBB0_14
; %bb.13:
	global_load_u16 v15, v[45:46], off
.LBB0_14:
	.loc	1 0 20 is_stmt 0                ; matmul.py:0:20
	s_or_b32 exec_lo, exec_lo, s6
	.loc	1 22 68 is_stmt 1               ; matmul.py:22:68
	v_mul_lo_u32 v3, v3, s8
	v_rcp_iflag_f32_e32 v24, v7
	.loc	1 0 0 is_stmt 0                 ; matmul.py:0
	v_xor_b32_e32 v7, v2, v21
	s_delay_alu instid0(VALU_DEP_2) | instskip(NEXT) | instid1(VALU_DEP_1)
	.loc	1 22 68                         ; matmul.py:22:68
	v_sub_nc_u32_e32 v3, v17, v3
	v_subrev_nc_u32_e32 v4, s8, v3
	v_cmp_le_u32_e32 vcc_lo, s8, v3
	s_delay_alu instid0(VALU_DEP_2) | instskip(NEXT) | instid1(VALU_DEP_1)
	v_cndmask_b32_e32 v3, v3, v4, vcc_lo
	v_subrev_nc_u32_e32 v4, s8, v3
	v_cmp_le_u32_e32 vcc_lo, s8, v3
	s_delay_alu instid0(VALU_DEP_2) | instskip(NEXT) | instid1(VALU_DEP_1)
	v_cndmask_b32_e32 v3, v3, v4, vcc_lo
	v_xor_b32_e32 v3, v3, v21
	s_delay_alu instid0(VALU_DEP_1) | instskip(NEXT) | instid1(VALU_DEP_1)
	v_sub_nc_u32_e32 v17, v3, v21
	.loc	1 25 53 is_stmt 1               ; matmul.py:25:53
	v_mad_u64_u32 v[3:4], null, v17, s19, v[1:2]
	.loc	1 0 0 is_stmt 0                 ; matmul.py:0
	v_add_nc_u32_e32 v17, 48, v20
	s_delay_alu instid0(VALU_DEP_2) | instskip(NEXT) | instid1(VALU_DEP_1)
	.loc	1 25 22                         ; matmul.py:25:22
	v_ashrrev_i32_e32 v4, 31, v3
	v_lshlrev_b64 v[79:80], 1, v[3:4]
	.loc	1 0 0                           ; matmul.py:0
	v_mad_u64_u32 v[3:4], null, v23, v22, 0
	s_delay_alu instid0(VALU_DEP_2) | instskip(NEXT) | instid1(VALU_DEP_1)
	.loc	1 25 22                         ; matmul.py:25:22
	v_add_co_u32 v47, vcc_lo, s4, v79
	v_add_co_ci_u32_e64 v48, null, s5, v80, vcc_lo
	.loc	1 30 20 is_stmt 1               ; matmul.py:30:20
	s_and_saveexec_b32 s6, s2
	s_cbranch_execz .LBB0_16
; %bb.15:
	global_load_u16 v14, v[47:48], off
.LBB0_16:
	.loc	1 0 20 is_stmt 0                ; matmul.py:0:20
	s_or_b32 exec_lo, exec_lo, s6
	.loc	1 22 68 is_stmt 1               ; matmul.py:22:68
	v_mul_lo_u32 v2, v6, s8
	v_mul_f32_e32 v25, 0x4f7ffffe, v24
	.loc	1 0 0 is_stmt 0                 ; matmul.py:0
	v_xor_b32_e32 v24, v17, v21
	v_mov_b32_e32 v17, 0
	s_delay_alu instid0(VALU_DEP_4) | instskip(SKIP_1) | instid1(VALU_DEP_2)
	.loc	1 22 68                         ; matmul.py:22:68
	v_sub_nc_u32_e32 v2, v16, v2
	v_mov_b32_e32 v16, 0
	v_subrev_nc_u32_e32 v3, s8, v2
	v_cmp_le_u32_e32 vcc_lo, s8, v2
	s_delay_alu instid0(VALU_DEP_2) | instskip(NEXT) | instid1(VALU_DEP_1)
	v_cndmask_b32_e32 v2, v2, v3, vcc_lo
	v_subrev_nc_u32_e32 v3, s8, v2
	v_cmp_le_u32_e32 vcc_lo, s8, v2
	s_delay_alu instid0(VALU_DEP_2) | instskip(NEXT) | instid1(VALU_DEP_1)
	v_cndmask_b32_e32 v2, v2, v3, vcc_lo
	v_xor_b32_e32 v2, v2, v21
	s_delay_alu instid0(VALU_DEP_1) | instskip(NEXT) | instid1(VALU_DEP_1)
	v_sub_nc_u32_e32 v6, v2, v21
	.loc	1 25 53 is_stmt 1               ; matmul.py:25:53
	v_mad_u64_u32 v[2:3], null, v6, s19, v[1:2]
	.loc	1 0 0 is_stmt 0                 ; matmul.py:0
	v_add_nc_u32_e32 v6, 52, v20
	s_delay_alu instid0(VALU_DEP_2) | instskip(NEXT) | instid1(VALU_DEP_1)
	.loc	1 25 22                         ; matmul.py:25:22
	v_ashrrev_i32_e32 v3, 31, v2
	v_lshlrev_b64 v[81:82], 1, v[2:3]
	.loc	1 0 0                           ; matmul.py:0
	v_mad_u64_u32 v[2:3], null, v7, v22, 0
	s_delay_alu instid0(VALU_DEP_2) | instskip(NEXT) | instid1(VALU_DEP_1)
	.loc	1 25 22                         ; matmul.py:25:22
	v_add_co_u32 v49, vcc_lo, s4, v81
	v_add_co_ci_u32_e64 v50, null, s5, v82, vcc_lo
	.loc	1 30 20 is_stmt 1               ; matmul.py:30:20
	s_and_saveexec_b32 s6, s2
	s_cbranch_execz .LBB0_18
; %bb.17:
	global_load_u16 v17, v[49:50], off
.LBB0_18:
	.loc	1 0 20 is_stmt 0                ; matmul.py:0:20
	s_or_b32 exec_lo, exec_lo, s6
	.loc	1 22 68 is_stmt 1               ; matmul.py:22:68
	v_mul_lo_u32 v2, v5, s8
	v_cvt_u32_f32_e32 v28, v25
	.loc	1 0 0 is_stmt 0                 ; matmul.py:0
	v_xor_b32_e32 v25, v6, v21
	v_lshlrev_b32_e32 v162, 6, v19
	s_sub_i32 s6, 0, s10
	s_delay_alu instid0(VALU_DEP_4) | instskip(SKIP_1) | instid1(VALU_DEP_2)
	.loc	1 22 68                         ; matmul.py:22:68
	v_sub_nc_u32_e32 v2, v18, v2
	v_and_b32_e32 v18, 63, v0
	v_subrev_nc_u32_e32 v5, s8, v2
	v_cmp_le_u32_e32 vcc_lo, s8, v2
	s_delay_alu instid0(VALU_DEP_2) | instskip(NEXT) | instid1(VALU_DEP_1)
	v_cndmask_b32_e32 v2, v2, v5, vcc_lo
	v_subrev_nc_u32_e32 v5, s8, v2
	v_cmp_le_u32_e32 vcc_lo, s8, v2
	s_delay_alu instid0(VALU_DEP_2) | instskip(SKIP_1) | instid1(VALU_DEP_2)
	v_cndmask_b32_e32 v2, v2, v5, vcc_lo
	.loc	1 0 0                           ; matmul.py:0
	v_mad_u64_u32 v[5:6], null, v24, v22, 0
	.loc	1 22 68                         ; matmul.py:22:68
	v_xor_b32_e32 v2, v2, v21
	s_delay_alu instid0(VALU_DEP_1) | instskip(NEXT) | instid1(VALU_DEP_1)
	v_sub_nc_u32_e32 v2, v2, v21
	.loc	1 25 53 is_stmt 1               ; matmul.py:25:53
	v_mad_u64_u32 v[26:27], null, v2, s19, v[1:2]
	s_delay_alu instid0(VALU_DEP_1) | instskip(NEXT) | instid1(VALU_DEP_1)
	.loc	1 25 22 is_stmt 0               ; matmul.py:25:22
	v_ashrrev_i32_e32 v27, 31, v26
	v_lshlrev_b64 v[83:84], 1, v[26:27]
	.loc	1 0 0                           ; matmul.py:0
	v_add_nc_u32_e32 v26, 56, v20
	s_delay_alu instid0(VALU_DEP_2) | instskip(NEXT) | instid1(VALU_DEP_1)
	.loc	1 25 22                         ; matmul.py:25:22
	v_add_co_u32 v51, vcc_lo, s4, v83
	v_add_co_ci_u32_e64 v52, null, s5, v84, vcc_lo
	.loc	1 30 20 is_stmt 1               ; matmul.py:30:20
	s_and_saveexec_b32 s7, s2
	s_cbranch_execz .LBB0_20
; %bb.19:
	global_load_u16 v16, v[51:52], off
.LBB0_20:
	.loc	1 0 20 is_stmt 0                ; matmul.py:0:20
	s_or_b32 exec_lo, exec_lo, s7
	.loc	1 22 68 is_stmt 1               ; matmul.py:22:68
	v_mul_lo_u32 v2, v4, s8
	.loc	1 0 0 is_stmt 0                 ; matmul.py:0
	v_mul_lo_u32 v27, s6, v28
	v_or_b32_e32 v29, v162, v18
	v_xor_b32_e32 v26, v26, v21
	s_delay_alu instid0(VALU_DEP_4) | instskip(SKIP_2) | instid1(VALU_DEP_3)
	.loc	1 22 68                         ; matmul.py:22:68
	v_sub_nc_u32_e32 v2, v23, v2
	.loc	1 0 0                           ; matmul.py:0
	v_bfe_i32 v23, v19, 25, 1
	v_mov_b32_e32 v19, 0
	.loc	1 22 68                         ; matmul.py:22:68
	v_subrev_nc_u32_e32 v4, s8, v2
	v_cmp_le_u32_e32 vcc_lo, s8, v2
	s_delay_alu instid0(VALU_DEP_2) | instskip(NEXT) | instid1(VALU_DEP_1)
	v_cndmask_b32_e32 v2, v2, v4, vcc_lo
	v_subrev_nc_u32_e32 v4, s8, v2
	v_cmp_le_u32_e32 vcc_lo, s8, v2
	s_delay_alu instid0(VALU_DEP_2) | instskip(NEXT) | instid1(VALU_DEP_1)
	v_cndmask_b32_e32 v2, v2, v4, vcc_lo
	v_xor_b32_e32 v2, v2, v21
	s_delay_alu instid0(VALU_DEP_1) | instskip(NEXT) | instid1(VALU_DEP_1)
	v_sub_nc_u32_e32 v2, v2, v21
	.loc	1 25 53 is_stmt 1               ; matmul.py:25:53
	v_mad_u64_u32 v[4:5], null, v2, s19, v[1:2]
	.loc	1 0 0 is_stmt 0                 ; matmul.py:0
	v_add_nc_u32_e32 v2, 60, v20
	v_mov_b32_e32 v20, 0
	s_delay_alu instid0(VALU_DEP_3) | instskip(NEXT) | instid1(VALU_DEP_1)
	.loc	1 25 22                         ; matmul.py:25:22
	v_ashrrev_i32_e32 v5, 31, v4
	v_lshlrev_b64 v[85:86], 1, v[4:5]
	.loc	1 0 0                           ; matmul.py:0
	v_mad_u64_u32 v[4:5], null, v25, v22, 0
	s_delay_alu instid0(VALU_DEP_2) | instskip(NEXT) | instid1(VALU_DEP_1)
	.loc	1 25 22                         ; matmul.py:25:22
	v_add_co_u32 v53, vcc_lo, s4, v85
	v_add_co_ci_u32_e64 v54, null, s5, v86, vcc_lo
	.loc	1 30 20 is_stmt 1               ; matmul.py:30:20
	s_and_saveexec_b32 s6, s2
	s_cbranch_execz .LBB0_22
; %bb.21:
	global_load_u16 v20, v[53:54], off
.LBB0_22:
	.loc	1 0 20 is_stmt 0                ; matmul.py:0:20
	s_or_b32 exec_lo, exec_lo, s6
	.loc	1 22 68 is_stmt 1               ; matmul.py:22:68
	v_mul_lo_u32 v3, v3, s8
	s_delay_alu instid0(VALU_DEP_1) | instskip(SKIP_2) | instid1(VALU_DEP_3)
	v_sub_nc_u32_e32 v3, v7, v3
	.loc	1 0 0 is_stmt 0                 ; matmul.py:0
	v_mul_hi_u32 v7, v28, v27
	v_xor_b32_e32 v27, v2, v21
	.loc	1 22 68                         ; matmul.py:22:68
	v_subrev_nc_u32_e32 v4, s8, v3
	v_cmp_le_u32_e32 vcc_lo, s8, v3
	s_delay_alu instid0(VALU_DEP_2) | instskip(NEXT) | instid1(VALU_DEP_1)
	v_cndmask_b32_e32 v3, v3, v4, vcc_lo
	v_subrev_nc_u32_e32 v4, s8, v3
	v_cmp_le_u32_e32 vcc_lo, s8, v3
	s_delay_alu instid0(VALU_DEP_2) | instskip(NEXT) | instid1(VALU_DEP_1)
	v_dual_cndmask_b32 v3, v3, v4 :: v_dual_add_nc_u32 v4, v29, v23
	v_xor_b32_e32 v3, v3, v21
	s_delay_alu instid0(VALU_DEP_1) | instskip(NEXT) | instid1(VALU_DEP_1)
	v_sub_nc_u32_e32 v3, v3, v21
	.loc	1 25 53 is_stmt 1               ; matmul.py:25:53
	v_mad_u64_u32 v[30:31], null, v3, s19, v[1:2]
	.loc	1 0 0 is_stmt 0                 ; matmul.py:0
	v_mad_u64_u32 v[2:3], null, v26, v22, 0
	s_delay_alu instid0(VALU_DEP_2) | instskip(NEXT) | instid1(VALU_DEP_1)
	.loc	1 25 22                         ; matmul.py:25:22
	v_ashrrev_i32_e32 v31, 31, v30
	v_lshlrev_b64 v[87:88], 1, v[30:31]
	s_delay_alu instid0(VALU_DEP_1) | instskip(NEXT) | instid1(VALU_DEP_1)
	v_add_co_u32 v55, vcc_lo, s4, v87
	v_add_co_ci_u32_e64 v56, null, s5, v88, vcc_lo
	.loc	1 30 20 is_stmt 1               ; matmul.py:30:20
	s_and_saveexec_b32 s6, s2
	s_cbranch_execz .LBB0_24
; %bb.23:
	global_load_u16 v19, v[55:56], off
.LBB0_24:
	.loc	1 0 20 is_stmt 0                ; matmul.py:0:20
	s_or_b32 exec_lo, exec_lo, s6
	.loc	1 22 68 is_stmt 1               ; matmul.py:22:68
	v_mul_lo_u32 v2, v6, s8
	s_delay_alu instid0(VALU_DEP_1) | instskip(SKIP_1) | instid1(VALU_DEP_2)
	v_sub_nc_u32_e32 v2, v24, v2
	.loc	1 0 0 is_stmt 0                 ; matmul.py:0
	v_add_nc_u32_e32 v24, v28, v7
	.loc	1 22 68                         ; matmul.py:22:68
	v_subrev_nc_u32_e32 v6, s8, v2
	v_cmp_le_u32_e32 vcc_lo, s8, v2
	s_delay_alu instid0(VALU_DEP_2) | instskip(NEXT) | instid1(VALU_DEP_1)
	v_cndmask_b32_e32 v2, v2, v6, vcc_lo
	v_subrev_nc_u32_e32 v6, s8, v2
	v_cmp_le_u32_e32 vcc_lo, s8, v2
	s_delay_alu instid0(VALU_DEP_2) | instskip(SKIP_3) | instid1(VALU_DEP_4)
	v_cndmask_b32_e32 v2, v2, v6, vcc_lo
	.loc	1 0 0                           ; matmul.py:0
	v_mad_u64_u32 v[6:7], null, v27, v22, 0
	v_mov_b32_e32 v6, 0
	v_mov_b32_e32 v22, 0
	.loc	1 22 68                         ; matmul.py:22:68
	v_xor_b32_e32 v2, v2, v21
	s_delay_alu instid0(VALU_DEP_1) | instskip(NEXT) | instid1(VALU_DEP_1)
	v_sub_nc_u32_e32 v2, v2, v21
	.loc	1 25 53 is_stmt 1               ; matmul.py:25:53
	v_mad_u64_u32 v[29:30], null, v2, s19, v[1:2]
	.loc	1 0 0 is_stmt 0                 ; matmul.py:0
	v_xor_b32_e32 v2, v4, v23
	s_delay_alu instid0(VALU_DEP_2) | instskip(NEXT) | instid1(VALU_DEP_1)
	.loc	1 25 22                         ; matmul.py:25:22
	v_ashrrev_i32_e32 v30, 31, v29
	v_lshlrev_b64 v[89:90], 1, v[29:30]
	s_delay_alu instid0(VALU_DEP_1) | instskip(NEXT) | instid1(VALU_DEP_1)
	v_add_co_u32 v57, vcc_lo, s4, v89
	v_add_co_ci_u32_e64 v58, null, s5, v90, vcc_lo
	.loc	1 30 20 is_stmt 1               ; matmul.py:30:20
	s_and_saveexec_b32 s6, s2
	s_cbranch_execz .LBB0_26
; %bb.25:
	global_load_u16 v22, v[57:58], off
.LBB0_26:
	.loc	1 0 20 is_stmt 0                ; matmul.py:0:20
	s_or_b32 exec_lo, exec_lo, s6
	.loc	1 22 68 is_stmt 1               ; matmul.py:22:68
	v_mul_lo_u32 v4, v5, s8
	s_delay_alu instid0(VALU_DEP_1) | instskip(NEXT) | instid1(VALU_DEP_1)
	v_sub_nc_u32_e32 v4, v25, v4
	v_subrev_nc_u32_e32 v5, s8, v4
	v_cmp_le_u32_e32 vcc_lo, s8, v4
	s_delay_alu instid0(VALU_DEP_2) | instskip(NEXT) | instid1(VALU_DEP_1)
	v_cndmask_b32_e32 v4, v4, v5, vcc_lo
	v_subrev_nc_u32_e32 v5, s8, v4
	v_cmp_le_u32_e32 vcc_lo, s8, v4
	s_delay_alu instid0(VALU_DEP_2) | instskip(NEXT) | instid1(VALU_DEP_1)
	v_cndmask_b32_e32 v4, v4, v5, vcc_lo
	v_xor_b32_e32 v4, v4, v21
	s_delay_alu instid0(VALU_DEP_1) | instskip(NEXT) | instid1(VALU_DEP_1)
	v_sub_nc_u32_e32 v25, v4, v21
	.loc	1 25 53                         ; matmul.py:25:53
	v_mad_u64_u32 v[4:5], null, v25, s19, v[1:2]
	s_delay_alu instid0(VALU_DEP_1) | instskip(NEXT) | instid1(VALU_DEP_1)
	.loc	1 25 22 is_stmt 0               ; matmul.py:25:22
	v_ashrrev_i32_e32 v5, 31, v4
	v_lshlrev_b64 v[91:92], 1, v[4:5]
	.loc	1 0 0                           ; matmul.py:0
	v_mad_u64_u32 v[4:5], null, v2, v24, 0
	s_delay_alu instid0(VALU_DEP_2) | instskip(NEXT) | instid1(VALU_DEP_1)
	.loc	1 25 22                         ; matmul.py:25:22
	v_add_co_u32 v59, vcc_lo, s4, v91
	v_add_co_ci_u32_e64 v60, null, s5, v92, vcc_lo
	.loc	1 30 20 is_stmt 1               ; matmul.py:30:20
	s_and_saveexec_b32 s6, s2
	s_cbranch_execz .LBB0_28
; %bb.27:
	global_load_u16 v6, v[59:60], off
.LBB0_28:
	.loc	1 0 20 is_stmt 0                ; matmul.py:0:20
	s_or_b32 exec_lo, exec_lo, s6
	.loc	1 22 68 is_stmt 1               ; matmul.py:22:68
	v_mul_lo_u32 v3, v3, s8
	s_load_b64 s[6:7], s[0:1], 0x8
	s_delay_alu instid0(VALU_DEP_1) | instskip(NEXT) | instid1(VALU_DEP_1)
	v_sub_nc_u32_e32 v3, v26, v3
	v_subrev_nc_u32_e32 v4, s8, v3
	v_cmp_le_u32_e32 vcc_lo, s8, v3
	s_delay_alu instid0(VALU_DEP_2) | instskip(NEXT) | instid1(VALU_DEP_1)
	v_cndmask_b32_e32 v3, v3, v4, vcc_lo
	v_subrev_nc_u32_e32 v4, s8, v3
	v_cmp_le_u32_e32 vcc_lo, s8, v3
	s_delay_alu instid0(VALU_DEP_2) | instskip(NEXT) | instid1(VALU_DEP_1)
	v_cndmask_b32_e32 v3, v3, v4, vcc_lo
	v_xor_b32_e32 v3, v3, v21
	s_delay_alu instid0(VALU_DEP_1) | instskip(NEXT) | instid1(VALU_DEP_1)
	v_sub_nc_u32_e32 v24, v3, v21
	.loc	1 25 53                         ; matmul.py:25:53
	v_mad_u64_u32 v[3:4], null, v24, s19, v[1:2]
	s_delay_alu instid0(VALU_DEP_1) | instskip(NEXT) | instid1(VALU_DEP_1)
	.loc	1 25 22 is_stmt 0               ; matmul.py:25:22
	v_ashrrev_i32_e32 v4, 31, v3
	v_lshlrev_b64 v[93:94], 1, v[3:4]
	v_dual_mov_b32 v3, 0 :: v_dual_mov_b32 v4, 0
	s_delay_alu instid0(VALU_DEP_2) | instskip(NEXT) | instid1(VALU_DEP_1)
	v_add_co_u32 v61, vcc_lo, s4, v93
	v_add_co_ci_u32_e64 v62, null, s5, v94, vcc_lo
	.loc	1 30 20 is_stmt 1               ; matmul.py:30:20
	s_and_saveexec_b32 s9, s2
	s_cbranch_execz .LBB0_30
; %bb.29:
	global_load_u16 v4, v[61:62], off
.LBB0_30:
	.loc	1 0 20 is_stmt 0                ; matmul.py:0:20
	s_or_b32 exec_lo, exec_lo, s9
	.loc	1 22 68 is_stmt 1               ; matmul.py:22:68
	v_mul_lo_u32 v7, v7, s8
	s_delay_alu instid0(VALU_DEP_1) | instskip(NEXT) | instid1(VALU_DEP_1)
	v_sub_nc_u32_e32 v7, v27, v7
	v_subrev_nc_u32_e32 v24, s8, v7
	v_cmp_le_u32_e32 vcc_lo, s8, v7
	s_delay_alu instid0(VALU_DEP_2) | instskip(NEXT) | instid1(VALU_DEP_1)
	v_cndmask_b32_e32 v7, v7, v24, vcc_lo
	v_subrev_nc_u32_e32 v24, s8, v7
	v_cmp_le_u32_e32 vcc_lo, s8, v7
	s_load_b64 s[8:9], s[0:1], 0x2c
	s_delay_alu instid0(VALU_DEP_2) | instskip(NEXT) | instid1(VALU_DEP_1)
	v_cndmask_b32_e32 v7, v7, v24, vcc_lo
	v_xor_b32_e32 v7, v7, v21
	s_delay_alu instid0(VALU_DEP_1) | instskip(NEXT) | instid1(VALU_DEP_1)
	v_sub_nc_u32_e32 v7, v7, v21
	.loc	1 25 53                         ; matmul.py:25:53
	v_mad_u64_u32 v[24:25], null, v7, s19, v[1:2]
	s_delay_alu instid0(VALU_DEP_1) | instskip(NEXT) | instid1(VALU_DEP_1)
	.loc	1 25 22 is_stmt 0               ; matmul.py:25:22
	v_ashrrev_i32_e32 v25, 31, v24
	v_lshlrev_b64 v[95:96], 1, v[24:25]
	s_delay_alu instid0(VALU_DEP_1) | instskip(NEXT) | instid1(VALU_DEP_1)
	v_add_co_u32 v63, vcc_lo, s4, v95
	v_add_co_ci_u32_e64 v64, null, s5, v96, vcc_lo
	.loc	1 30 20 is_stmt 1               ; matmul.py:30:20
	s_and_saveexec_b32 s11, s2
	s_cbranch_execz .LBB0_32
; %bb.31:
	global_load_u16 v3, v[63:64], off
.LBB0_32:
	.loc	1 0 20 is_stmt 0                ; matmul.py:0:20
	s_or_b32 exec_lo, exec_lo, s11
	.loc	1 23 68 is_stmt 1               ; matmul.py:23:68
	v_mul_lo_u32 v1, v5, s10
	.loc	1 26 29                         ; matmul.py:26:29
	v_lshrrev_b32_e32 v167, 6, v0
	.loc	1 26 40 is_stmt 0               ; matmul.py:26:40
	s_waitcnt lgkmcnt(0)
	s_delay_alu instid0(VALU_DEP_1) | instskip(NEXT) | instid1(VALU_DEP_3)
	v_mul_lo_u32 v5, s8, v167
	.loc	1 23 68 is_stmt 1               ; matmul.py:23:68
	v_sub_nc_u32_e32 v1, v2, v1
	s_delay_alu instid0(VALU_DEP_1) | instskip(SKIP_1) | instid1(VALU_DEP_2)
	v_subrev_nc_u32_e32 v2, s10, v1
	v_cmp_le_u32_e32 vcc_lo, s10, v1
	v_cndmask_b32_e32 v1, v1, v2, vcc_lo
	s_delay_alu instid0(VALU_DEP_1) | instskip(SKIP_1) | instid1(VALU_DEP_2)
	v_subrev_nc_u32_e32 v2, s10, v1
	v_cmp_le_u32_e32 vcc_lo, s10, v1
	v_cndmask_b32_e32 v1, v1, v2, vcc_lo
	.loc	1 31 51                         ; matmul.py:31:51
	v_cmp_gt_i32_e32 vcc_lo, s18, v167
	s_delay_alu instid0(VALU_DEP_2) | instskip(NEXT) | instid1(VALU_DEP_1)
	.loc	1 23 68                         ; matmul.py:23:68
	v_xor_b32_e32 v1, v1, v23
	v_sub_nc_u32_e32 v7, v1, v23
	.loc	1 26 52                         ; matmul.py:26:52
	s_waitcnt vmcnt(0)
	s_delay_alu instid0(VALU_DEP_1) | instskip(SKIP_2) | instid1(VALU_DEP_2)
	v_mad_u64_u32 v[1:2], null, v7, s9, v[5:6]
	v_mov_b32_e32 v5, 0
	.loc	1 29 22                         ; matmul.py:29:22
	s_and_b32 s9, vcc_lo, s12
	.loc	1 26 22                         ; matmul.py:26:22
	v_ashrrev_i32_e32 v2, 31, v1
	s_delay_alu instid0(VALU_DEP_1) | instskip(SKIP_1) | instid1(VALU_DEP_2)
	v_lshlrev_b64 v[97:98], 1, v[1:2]
	v_mov_b32_e32 v2, 0
	v_add_co_u32 v129, s2, s6, v97
	s_delay_alu instid0(VALU_DEP_1)
	v_add_co_ci_u32_e64 v130, null, s7, v98, s2
	.loc	1 31 20                         ; matmul.py:31:20
	s_and_saveexec_b32 s2, s9
	s_cbranch_execz .LBB0_34
; %bb.33:
	global_load_u16 v5, v[129:130], off
.LBB0_34:
	.loc	1 0 20 is_stmt 0                ; matmul.py:0:20
	s_or_b32 exec_lo, exec_lo, s2
	.loc	1 26 52 is_stmt 1               ; matmul.py:26:52
	v_lshl_add_u32 v23, s8, 1, v1
	.loc	1 26 29 is_stmt 0               ; matmul.py:26:29
	v_or_b32_e32 v168, 2, v167
	s_delay_alu instid0(VALU_DEP_2) | instskip(NEXT) | instid1(VALU_DEP_2)
	.loc	1 26 22                         ; matmul.py:26:22
	v_ashrrev_i32_e32 v24, 31, v23
	.loc	1 31 51 is_stmt 1               ; matmul.py:31:51
	v_cmp_gt_i32_e32 vcc_lo, s18, v168
	s_delay_alu instid0(VALU_DEP_2) | instskip(SKIP_1) | instid1(VALU_DEP_1)
	.loc	1 26 22                         ; matmul.py:26:22
	v_lshlrev_b64 v[99:100], 1, v[23:24]
	.loc	1 29 22                         ; matmul.py:29:22
	s_and_b32 s9, vcc_lo, s12
	.loc	1 26 22                         ; matmul.py:26:22
	v_add_co_u32 v131, s2, s6, v99
	s_delay_alu instid0(VALU_DEP_1)
	v_add_co_ci_u32_e64 v132, null, s7, v100, s2
	.loc	1 31 20                         ; matmul.py:31:20
	s_and_saveexec_b32 s2, s9
	s_cbranch_execz .LBB0_36
; %bb.35:
	global_load_u16 v2, v[131:132], off
.LBB0_36:
	.loc	1 0 20 is_stmt 0                ; matmul.py:0:20
	s_or_b32 exec_lo, exec_lo, s2
	.loc	1 26 52 is_stmt 1               ; matmul.py:26:52
	v_lshl_add_u32 v23, s8, 2, v1
	.loc	1 26 29 is_stmt 0               ; matmul.py:26:29
	v_or_b32_e32 v169, 4, v167
	v_mov_b32_e32 v7, 0
	v_mov_b32_e32 v21, 0
	s_delay_alu instid0(VALU_DEP_4) | instskip(NEXT) | instid1(VALU_DEP_4)
	.loc	1 26 22                         ; matmul.py:26:22
	v_ashrrev_i32_e32 v24, 31, v23
	.loc	1 31 51 is_stmt 1               ; matmul.py:31:51
	v_cmp_gt_i32_e32 vcc_lo, s18, v169
	s_delay_alu instid0(VALU_DEP_2) | instskip(SKIP_1) | instid1(VALU_DEP_1)
	.loc	1 26 22                         ; matmul.py:26:22
	v_lshlrev_b64 v[101:102], 1, v[23:24]
	.loc	1 29 22                         ; matmul.py:29:22
	s_and_b32 s9, vcc_lo, s12
	.loc	1 26 22                         ; matmul.py:26:22
	v_add_co_u32 v133, s2, s6, v101
	s_delay_alu instid0(VALU_DEP_1)
	v_add_co_ci_u32_e64 v134, null, s7, v102, s2
	.loc	1 31 20                         ; matmul.py:31:20
	s_and_saveexec_b32 s2, s9
	s_cbranch_execz .LBB0_38
; %bb.37:
	global_load_u16 v21, v[133:134], off
.LBB0_38:
	.loc	1 0 20 is_stmt 0                ; matmul.py:0:20
	s_or_b32 exec_lo, exec_lo, s2
	.loc	1 26 52 is_stmt 1               ; matmul.py:26:52
	s_waitcnt vmcnt(0)
	v_mad_u64_u32 v[23:24], null, s8, 6, v[1:2]
	.loc	1 26 29 is_stmt 0               ; matmul.py:26:29
	v_or_b32_e32 v170, 6, v167
	s_delay_alu instid0(VALU_DEP_1) | instskip(NEXT) | instid1(VALU_DEP_3)
	.loc	1 31 51 is_stmt 1               ; matmul.py:31:51
	v_cmp_gt_i32_e32 vcc_lo, s18, v170
	.loc	1 26 22                         ; matmul.py:26:22
	v_ashrrev_i32_e32 v24, 31, v23
	.loc	1 29 22                         ; matmul.py:29:22
	s_and_b32 s9, vcc_lo, s12
	s_delay_alu instid0(VALU_DEP_1) | instskip(NEXT) | instid1(VALU_DEP_1)
	.loc	1 26 22                         ; matmul.py:26:22
	v_lshlrev_b64 v[103:104], 1, v[23:24]
	v_add_co_u32 v135, s2, s6, v103
	s_delay_alu instid0(VALU_DEP_1)
	v_add_co_ci_u32_e64 v136, null, s7, v104, s2
	.loc	1 31 20                         ; matmul.py:31:20
	s_and_saveexec_b32 s2, s9
	s_cbranch_execz .LBB0_40
; %bb.39:
	global_load_u16 v7, v[135:136], off
.LBB0_40:
	.loc	1 0 20 is_stmt 0                ; matmul.py:0:20
	s_or_b32 exec_lo, exec_lo, s2
	.loc	1 26 52 is_stmt 1               ; matmul.py:26:52
	v_lshl_add_u32 v23, s8, 3, v1
	.loc	1 26 29 is_stmt 0               ; matmul.py:26:29
	v_or_b32_e32 v171, 8, v167
	s_delay_alu instid0(VALU_DEP_2) | instskip(NEXT) | instid1(VALU_DEP_2)
	.loc	1 26 22                         ; matmul.py:26:22
	v_ashrrev_i32_e32 v24, 31, v23
	.loc	1 31 51 is_stmt 1               ; matmul.py:31:51
	v_cmp_gt_i32_e32 vcc_lo, s18, v171
	s_delay_alu instid0(VALU_DEP_2) | instskip(SKIP_2) | instid1(VALU_DEP_2)
	.loc	1 26 22                         ; matmul.py:26:22
	v_lshlrev_b64 v[105:106], 1, v[23:24]
	v_dual_mov_b32 v23, 0 :: v_dual_mov_b32 v24, 0
	.loc	1 29 22                         ; matmul.py:29:22
	s_and_b32 s9, vcc_lo, s12
	.loc	1 26 22                         ; matmul.py:26:22
	v_add_co_u32 v137, s2, s6, v105
	s_delay_alu instid0(VALU_DEP_1)
	v_add_co_ci_u32_e64 v138, null, s7, v106, s2
	.loc	1 31 20                         ; matmul.py:31:20
	s_and_saveexec_b32 s2, s9
	s_cbranch_execz .LBB0_42
; %bb.41:
	global_load_u16 v24, v[137:138], off
.LBB0_42:
	.loc	1 0 20 is_stmt 0                ; matmul.py:0:20
	s_or_b32 exec_lo, exec_lo, s2
	.loc	1 26 52 is_stmt 1               ; matmul.py:26:52
	v_mad_u64_u32 v[25:26], null, s8, 10, v[1:2]
	.loc	1 26 29 is_stmt 0               ; matmul.py:26:29
	v_or_b32_e32 v172, 10, v167
	s_delay_alu instid0(VALU_DEP_1) | instskip(NEXT) | instid1(VALU_DEP_3)
	.loc	1 31 51 is_stmt 1               ; matmul.py:31:51
	v_cmp_gt_i32_e32 vcc_lo, s18, v172
	.loc	1 26 22                         ; matmul.py:26:22
	v_ashrrev_i32_e32 v26, 31, v25
	.loc	1 29 22                         ; matmul.py:29:22
	s_and_b32 s9, vcc_lo, s12
	s_delay_alu instid0(VALU_DEP_1) | instskip(NEXT) | instid1(VALU_DEP_1)
	.loc	1 26 22                         ; matmul.py:26:22
	v_lshlrev_b64 v[107:108], 1, v[25:26]
	v_add_co_u32 v139, s2, s6, v107
	s_delay_alu instid0(VALU_DEP_1)
	v_add_co_ci_u32_e64 v140, null, s7, v108, s2
	.loc	1 31 20                         ; matmul.py:31:20
	s_and_saveexec_b32 s2, s9
	s_cbranch_execz .LBB0_44
; %bb.43:
	global_load_u16 v23, v[139:140], off
.LBB0_44:
	.loc	1 0 20 is_stmt 0                ; matmul.py:0:20
	s_or_b32 exec_lo, exec_lo, s2
	.loc	1 26 52 is_stmt 1               ; matmul.py:26:52
	v_mad_u64_u32 v[25:26], null, s8, 12, v[1:2]
	.loc	1 26 29 is_stmt 0               ; matmul.py:26:29
	v_or_b32_e32 v173, 12, v167
	s_delay_alu instid0(VALU_DEP_1) | instskip(NEXT) | instid1(VALU_DEP_3)
	.loc	1 31 51 is_stmt 1               ; matmul.py:31:51
	v_cmp_gt_i32_e32 vcc_lo, s18, v173
	.loc	1 26 22                         ; matmul.py:26:22
	v_ashrrev_i32_e32 v26, 31, v25
	.loc	1 29 22                         ; matmul.py:29:22
	s_and_b32 s9, vcc_lo, s12
	s_delay_alu instid0(VALU_DEP_1) | instskip(SKIP_1) | instid1(VALU_DEP_2)
	.loc	1 26 22                         ; matmul.py:26:22
	v_lshlrev_b64 v[109:110], 1, v[25:26]
	v_dual_mov_b32 v25, 0 :: v_dual_mov_b32 v26, 0
	v_add_co_u32 v141, s2, s6, v109
	s_delay_alu instid0(VALU_DEP_1)
	v_add_co_ci_u32_e64 v142, null, s7, v110, s2
	.loc	1 31 20                         ; matmul.py:31:20
	s_and_saveexec_b32 s2, s9
	s_cbranch_execz .LBB0_46
; %bb.45:
	global_load_u16 v26, v[141:142], off
.LBB0_46:
	.loc	1 0 20 is_stmt 0                ; matmul.py:0:20
	s_or_b32 exec_lo, exec_lo, s2
	.loc	1 26 52 is_stmt 1               ; matmul.py:26:52
	v_mad_u64_u32 v[27:28], null, s8, 14, v[1:2]
	.loc	1 26 29 is_stmt 0               ; matmul.py:26:29
	v_or_b32_e32 v174, 14, v167
	s_delay_alu instid0(VALU_DEP_1) | instskip(NEXT) | instid1(VALU_DEP_3)
	.loc	1 31 51 is_stmt 1               ; matmul.py:31:51
	v_cmp_gt_i32_e32 vcc_lo, s18, v174
	.loc	1 26 22                         ; matmul.py:26:22
	v_ashrrev_i32_e32 v28, 31, v27
	.loc	1 29 22                         ; matmul.py:29:22
	s_and_b32 s9, vcc_lo, s12
	s_delay_alu instid0(VALU_DEP_1) | instskip(NEXT) | instid1(VALU_DEP_1)
	.loc	1 26 22                         ; matmul.py:26:22
	v_lshlrev_b64 v[111:112], 1, v[27:28]
	v_add_co_u32 v143, s2, s6, v111
	s_delay_alu instid0(VALU_DEP_1)
	v_add_co_ci_u32_e64 v144, null, s7, v112, s2
	.loc	1 31 20                         ; matmul.py:31:20
	s_and_saveexec_b32 s2, s9
	s_cbranch_execz .LBB0_48
; %bb.47:
	global_load_u16 v25, v[143:144], off
.LBB0_48:
	.loc	1 0 20 is_stmt 0                ; matmul.py:0:20
	s_or_b32 exec_lo, exec_lo, s2
	.loc	1 26 52 is_stmt 1               ; matmul.py:26:52
	v_lshl_add_u32 v27, s8, 4, v1
	.loc	1 26 29 is_stmt 0               ; matmul.py:26:29
	v_or_b32_e32 v175, 16, v167
	s_delay_alu instid0(VALU_DEP_2) | instskip(NEXT) | instid1(VALU_DEP_2)
	.loc	1 26 22                         ; matmul.py:26:22
	v_ashrrev_i32_e32 v28, 31, v27
	.loc	1 31 51 is_stmt 1               ; matmul.py:31:51
	v_cmp_gt_i32_e32 vcc_lo, s18, v175
	s_delay_alu instid0(VALU_DEP_2) | instskip(SKIP_2) | instid1(VALU_DEP_2)
	.loc	1 26 22                         ; matmul.py:26:22
	v_lshlrev_b64 v[113:114], 1, v[27:28]
	v_dual_mov_b32 v27, 0 :: v_dual_mov_b32 v28, 0
	.loc	1 29 22                         ; matmul.py:29:22
	s_and_b32 s9, vcc_lo, s12
	.loc	1 26 22                         ; matmul.py:26:22
	v_add_co_u32 v145, s2, s6, v113
	s_delay_alu instid0(VALU_DEP_1)
	v_add_co_ci_u32_e64 v146, null, s7, v114, s2
	.loc	1 31 20                         ; matmul.py:31:20
	s_and_saveexec_b32 s2, s9
	s_cbranch_execz .LBB0_50
; %bb.49:
	global_load_u16 v28, v[145:146], off
.LBB0_50:
	.loc	1 0 20 is_stmt 0                ; matmul.py:0:20
	s_or_b32 exec_lo, exec_lo, s2
	.loc	1 26 52 is_stmt 1               ; matmul.py:26:52
	v_mad_u64_u32 v[29:30], null, s8, 18, v[1:2]
	.loc	1 26 29 is_stmt 0               ; matmul.py:26:29
	v_or_b32_e32 v176, 18, v167
	s_delay_alu instid0(VALU_DEP_1) | instskip(NEXT) | instid1(VALU_DEP_3)
	.loc	1 31 51 is_stmt 1               ; matmul.py:31:51
	v_cmp_gt_i32_e32 vcc_lo, s18, v176
	.loc	1 26 22                         ; matmul.py:26:22
	v_ashrrev_i32_e32 v30, 31, v29
	.loc	1 29 22                         ; matmul.py:29:22
	s_and_b32 s9, vcc_lo, s12
	s_delay_alu instid0(VALU_DEP_1) | instskip(NEXT) | instid1(VALU_DEP_1)
	.loc	1 26 22                         ; matmul.py:26:22
	v_lshlrev_b64 v[115:116], 1, v[29:30]
	v_add_co_u32 v147, s2, s6, v115
	s_delay_alu instid0(VALU_DEP_1)
	v_add_co_ci_u32_e64 v148, null, s7, v116, s2
	.loc	1 31 20                         ; matmul.py:31:20
	s_and_saveexec_b32 s2, s9
	s_cbranch_execz .LBB0_52
; %bb.51:
	global_load_u16 v27, v[147:148], off
.LBB0_52:
	.loc	1 0 20 is_stmt 0                ; matmul.py:0:20
	s_or_b32 exec_lo, exec_lo, s2
	.loc	1 26 52 is_stmt 1               ; matmul.py:26:52
	v_mad_u64_u32 v[29:30], null, s8, 20, v[1:2]
	.loc	1 26 29 is_stmt 0               ; matmul.py:26:29
	v_or_b32_e32 v177, 20, v167
	s_delay_alu instid0(VALU_DEP_1) | instskip(NEXT) | instid1(VALU_DEP_3)
	.loc	1 31 51 is_stmt 1               ; matmul.py:31:51
	v_cmp_gt_i32_e32 vcc_lo, s18, v177
	.loc	1 26 22                         ; matmul.py:26:22
	v_ashrrev_i32_e32 v30, 31, v29
	.loc	1 29 22                         ; matmul.py:29:22
	s_and_b32 s9, vcc_lo, s12
	s_delay_alu instid0(VALU_DEP_1) | instskip(SKIP_1) | instid1(VALU_DEP_2)
	.loc	1 26 22                         ; matmul.py:26:22
	v_lshlrev_b64 v[117:118], 1, v[29:30]
	v_dual_mov_b32 v29, 0 :: v_dual_mov_b32 v30, 0
	v_add_co_u32 v149, s2, s6, v117
	s_delay_alu instid0(VALU_DEP_1)
	v_add_co_ci_u32_e64 v150, null, s7, v118, s2
	.loc	1 31 20                         ; matmul.py:31:20
	s_and_saveexec_b32 s2, s9
	s_cbranch_execz .LBB0_54
; %bb.53:
	global_load_u16 v30, v[149:150], off
.LBB0_54:
	.loc	1 0 20 is_stmt 0                ; matmul.py:0:20
	s_or_b32 exec_lo, exec_lo, s2
	.loc	1 26 52 is_stmt 1               ; matmul.py:26:52
	v_mad_u64_u32 v[31:32], null, s8, 22, v[1:2]
	.loc	1 26 29 is_stmt 0               ; matmul.py:26:29
	v_or_b32_e32 v178, 22, v167
	s_delay_alu instid0(VALU_DEP_1) | instskip(NEXT) | instid1(VALU_DEP_3)
	.loc	1 31 51 is_stmt 1               ; matmul.py:31:51
	v_cmp_gt_i32_e32 vcc_lo, s18, v178
	.loc	1 26 22                         ; matmul.py:26:22
	v_ashrrev_i32_e32 v32, 31, v31
	.loc	1 29 22                         ; matmul.py:29:22
	s_and_b32 s9, vcc_lo, s12
	s_delay_alu instid0(VALU_DEP_1) | instskip(NEXT) | instid1(VALU_DEP_1)
	.loc	1 26 22                         ; matmul.py:26:22
	v_lshlrev_b64 v[119:120], 1, v[31:32]
	v_add_co_u32 v151, s2, s6, v119
	s_delay_alu instid0(VALU_DEP_1)
	v_add_co_ci_u32_e64 v152, null, s7, v120, s2
	.loc	1 31 20                         ; matmul.py:31:20
	s_and_saveexec_b32 s2, s9
	s_cbranch_execz .LBB0_56
; %bb.55:
	global_load_u16 v29, v[151:152], off
.LBB0_56:
	.loc	1 0 20 is_stmt 0                ; matmul.py:0:20
	s_or_b32 exec_lo, exec_lo, s2
	.loc	1 26 52 is_stmt 1               ; matmul.py:26:52
	v_mad_u64_u32 v[31:32], null, s8, 24, v[1:2]
	.loc	1 26 29 is_stmt 0               ; matmul.py:26:29
	v_or_b32_e32 v179, 24, v167
	s_delay_alu instid0(VALU_DEP_1) | instskip(NEXT) | instid1(VALU_DEP_3)
	.loc	1 31 51 is_stmt 1               ; matmul.py:31:51
	v_cmp_gt_i32_e32 vcc_lo, s18, v179
	.loc	1 26 22                         ; matmul.py:26:22
	v_ashrrev_i32_e32 v32, 31, v31
	.loc	1 29 22                         ; matmul.py:29:22
	s_and_b32 s9, vcc_lo, s12
	s_delay_alu instid0(VALU_DEP_1) | instskip(SKIP_1) | instid1(VALU_DEP_2)
	.loc	1 26 22                         ; matmul.py:26:22
	v_lshlrev_b64 v[121:122], 1, v[31:32]
	v_dual_mov_b32 v31, 0 :: v_dual_mov_b32 v32, 0
	v_add_co_u32 v153, s2, s6, v121
	s_delay_alu instid0(VALU_DEP_1)
	v_add_co_ci_u32_e64 v154, null, s7, v122, s2
	.loc	1 31 20                         ; matmul.py:31:20
	s_and_saveexec_b32 s2, s9
	s_cbranch_execz .LBB0_58
; %bb.57:
	global_load_u16 v32, v[153:154], off
.LBB0_58:
	.loc	1 0 20 is_stmt 0                ; matmul.py:0:20
	s_or_b32 exec_lo, exec_lo, s2
	.loc	1 26 52 is_stmt 1               ; matmul.py:26:52
	v_mad_u64_u32 v[123:124], null, s8, 26, v[1:2]
	.loc	1 26 29 is_stmt 0               ; matmul.py:26:29
	v_or_b32_e32 v180, 26, v167
	s_delay_alu instid0(VALU_DEP_1) | instskip(NEXT) | instid1(VALU_DEP_3)
	.loc	1 31 51 is_stmt 1               ; matmul.py:31:51
	v_cmp_gt_i32_e32 vcc_lo, s18, v180
	.loc	1 26 22                         ; matmul.py:26:22
	v_ashrrev_i32_e32 v124, 31, v123
	.loc	1 29 22                         ; matmul.py:29:22
	s_and_b32 s9, vcc_lo, s12
	s_delay_alu instid0(VALU_DEP_1) | instskip(NEXT) | instid1(VALU_DEP_1)
	.loc	1 26 22                         ; matmul.py:26:22
	v_lshlrev_b64 v[123:124], 1, v[123:124]
	v_add_co_u32 v155, s2, s6, v123
	s_delay_alu instid0(VALU_DEP_1)
	v_add_co_ci_u32_e64 v156, null, s7, v124, s2
	.loc	1 31 20                         ; matmul.py:31:20
	s_and_saveexec_b32 s2, s9
	s_cbranch_execz .LBB0_60
; %bb.59:
	global_load_u16 v31, v[155:156], off
.LBB0_60:
	.loc	1 0 20 is_stmt 0                ; matmul.py:0:20
	s_or_b32 exec_lo, exec_lo, s2
	.loc	1 26 52 is_stmt 1               ; matmul.py:26:52
	v_mad_u64_u32 v[125:126], null, s8, 28, v[1:2]
	.loc	1 26 29 is_stmt 0               ; matmul.py:26:29
	v_or_b32_e32 v181, 28, v167
	v_dual_mov_b32 v188, 0 :: v_dual_mov_b32 v187, 0
	s_delay_alu instid0(VALU_DEP_2) | instskip(NEXT) | instid1(VALU_DEP_4)
	.loc	1 31 51 is_stmt 1               ; matmul.py:31:51
	v_cmp_gt_i32_e32 vcc_lo, s18, v181
	.loc	1 26 22                         ; matmul.py:26:22
	v_ashrrev_i32_e32 v126, 31, v125
	.loc	1 29 22                         ; matmul.py:29:22
	s_and_b32 s9, vcc_lo, s12
	s_delay_alu instid0(VALU_DEP_1) | instskip(NEXT) | instid1(VALU_DEP_1)
	.loc	1 26 22                         ; matmul.py:26:22
	v_lshlrev_b64 v[125:126], 1, v[125:126]
	v_add_co_u32 v157, s2, s6, v125
	s_delay_alu instid0(VALU_DEP_1)
	v_add_co_ci_u32_e64 v158, null, s7, v126, s2
	.loc	1 31 20                         ; matmul.py:31:20
	s_and_saveexec_b32 s2, s9
	s_cbranch_execz .LBB0_62
; %bb.61:
	global_load_u16 v187, v[157:158], off
.LBB0_62:
	.loc	1 0 20 is_stmt 0                ; matmul.py:0:20
	s_or_b32 exec_lo, exec_lo, s2
	.loc	1 26 52 is_stmt 1               ; matmul.py:26:52
	v_mad_u64_u32 v[127:128], null, s8, 30, v[1:2]
	.loc	1 26 29 is_stmt 0               ; matmul.py:26:29
	v_or_b32_e32 v182, 30, v167
	v_and_b32_e32 v164, 64, v0
	s_delay_alu instid0(VALU_DEP_2) | instskip(NEXT) | instid1(VALU_DEP_4)
	.loc	1 31 51 is_stmt 1               ; matmul.py:31:51
	v_cmp_gt_i32_e32 vcc_lo, s18, v182
	.loc	1 26 22                         ; matmul.py:26:22
	v_ashrrev_i32_e32 v128, 31, v127
	.loc	1 29 22                         ; matmul.py:29:22
	s_and_b32 s9, vcc_lo, s12
	s_delay_alu instid0(VALU_DEP_1) | instskip(NEXT) | instid1(VALU_DEP_1)
	.loc	1 26 22                         ; matmul.py:26:22
	v_lshlrev_b64 v[127:128], 1, v[127:128]
	v_add_co_u32 v159, s2, s6, v127
	s_delay_alu instid0(VALU_DEP_1)
	v_add_co_ci_u32_e64 v160, null, s7, v128, s2
	.loc	1 31 20                         ; matmul.py:31:20
	s_and_saveexec_b32 s2, s9
	s_cbranch_execz .LBB0_64
; %bb.63:
	global_load_u16 v188, v[159:160], off
.LBB0_64:
	.loc	1 0 20 is_stmt 0                ; matmul.py:0:20
	s_or_b32 exec_lo, exec_lo, s2
	.loc	1 22 51 is_stmt 1               ; matmul.py:22:51
	v_cmp_eq_u32_e32 vcc_lo, 0, v164
	.loc	1 30 20                         ; matmul.py:30:20
	v_lshlrev_b32_e32 v1, 1, v18
	s_load_b64 s[20:21], s[0:1], 0x10
	.loc	1 22 51                         ; matmul.py:22:51
	v_and_b32_e32 v165, 15, v0
	v_and_b32_e32 v166, 32, v0
	.loc	1 30 20                         ; matmul.py:30:20
	v_cndmask_b32_e64 v18, 0x90, 0, vcc_lo
	.loc	1 29 22                         ; matmul.py:29:22
	s_cmp_lt_i32 s13, 64
	s_delay_alu instid0(VALU_DEP_1) | instskip(NEXT) | instid1(VALU_DEP_1)
	.loc	1 30 20                         ; matmul.py:30:20
	v_xor_b32_e32 v1, v18, v1
	v_dual_mov_b32 v18, 0 :: v_dual_add_nc_u32 v183, 0, v1
	v_xor_b32_e32 v1, 32, v1
	ds_store_b16 v183, v10
	ds_store_b16 v183, v12 offset:512
	ds_store_b16 v183, v13 offset:1024
	;; [unrolled: 1-line block ×7, first 2 shown]
	v_add_nc_u32_e32 v184, 0, v1
	.loc	1 31 20                         ; matmul.py:31:20
	v_lshlrev_b32_e32 v1, 1, v0
	.loc	1 30 20                         ; matmul.py:30:20
	ds_store_b16 v184, v9 offset:256
	ds_store_b16 v184, v11 offset:768
	;; [unrolled: 1-line block ×8, first 2 shown]
	v_dual_mov_b32 v16, 0 :: v_dual_add_nc_u32 v185, 0, v1
	.loc	1 31 20                         ; matmul.py:31:20
	ds_store_b16 v185, v5 offset:4096
	ds_store_b16 v185, v2 offset:4352
	;; [unrolled: 1-line block ×3, first 2 shown]
	s_waitcnt vmcnt(0)
	ds_store_b16 v185, v7 offset:4864
	ds_store_b16 v185, v24 offset:5120
	;; [unrolled: 1-line block ×4, first 2 shown]
	v_or_b32_e32 v2, 0x700, v1
	v_dual_mov_b32 v8, 0 :: v_dual_mov_b32 v7, 0
	v_dual_mov_b32 v6, 0 :: v_dual_mov_b32 v5, 0
	s_delay_alu instid0(VALU_DEP_3)
	v_dual_mov_b32 v3, 0 :: v_dual_add_nc_u32 v186, 0, v2
	v_mov_b32_e32 v2, 0
	v_or_b32_e32 v1, 0xf00, v1
	ds_store_b16 v186, v25 offset:4096
	ds_store_b16 v185, v28 offset:6144
	;; [unrolled: 1-line block ×8, first 2 shown]
	v_dual_mov_b32 v4, 0 :: v_dual_mov_b32 v15, 0
	v_dual_mov_b32 v10, 0 :: v_dual_add_nc_u32 v187, 0, v1
	v_dual_mov_b32 v14, 0 :: v_dual_mov_b32 v1, 0
	v_dual_mov_b32 v12, 0 :: v_dual_mov_b32 v13, 0
	;; [unrolled: 1-line block ×9, first 2 shown]
	v_mov_b32_e32 v29, 0
	v_mov_b32_e32 v27, 0
	;; [unrolled: 1-line block ×3, first 2 shown]
	ds_store_b16 v187, v188 offset:4096
	.loc	1 29 22                         ; matmul.py:29:22
	s_cbranch_scc1 .LBB0_196
; %bb.65:                               ; %.lr.ph
	.loc	1 30 55                         ; matmul.py:30:55
	s_sub_i32 s9, s18, 32
	v_dual_mov_b32 v192, 0 :: v_dual_mov_b32 v193, 0
	.loc	1 30 51 is_stmt 0               ; matmul.py:30:51
	v_cmp_gt_u32_e32 vcc_lo, s9, v163
	.loc	1 33 33 is_stmt 1               ; matmul.py:33:33
	s_lshl_b32 s10, s3, 5
	s_delay_alu instid0(SALU_CYCLE_1)
	s_ashr_i32 s11, s10, 31
	.loc	1 30 20                         ; matmul.py:30:20
	s_and_saveexec_b32 s3, vcc_lo
	s_cbranch_execz .LBB0_67
; %bb.66:
	.loc	1 33 18                         ; matmul.py:33:18
	s_lshl_b64 s[14:15], s[10:11], 1
	s_delay_alu instid0(SALU_CYCLE_1) | instskip(NEXT) | instid1(VALU_DEP_1)
	v_add_co_u32 v1, s2, v33, s14
	v_add_co_ci_u32_e64 v2, null, s15, v34, s2
	.loc	1 30 20                         ; matmul.py:30:20
	global_load_u16 v193, v[1:2], off
.LBB0_67:
	.loc	1 0 20 is_stmt 0                ; matmul.py:0:20
	s_or_b32 exec_lo, exec_lo, s3
	.loc	1 30 20                         ; matmul.py:30:20
	s_and_saveexec_b32 s3, vcc_lo
	s_cbranch_execz .LBB0_69
; %bb.68:
	.loc	1 33 18 is_stmt 1               ; matmul.py:33:18
	s_lshl_b64 s[14:15], s[10:11], 1
	s_delay_alu instid0(SALU_CYCLE_1) | instskip(NEXT) | instid1(VALU_DEP_1)
	v_add_co_u32 v1, s2, v35, s14
	v_add_co_ci_u32_e64 v2, null, s15, v36, s2
	.loc	1 30 20                         ; matmul.py:30:20
	global_load_u16 v192, v[1:2], off
.LBB0_69:
	.loc	1 0 20 is_stmt 0                ; matmul.py:0:20
	s_or_b32 exec_lo, exec_lo, s3
	v_dual_mov_b32 v194, 0 :: v_dual_mov_b32 v195, 0
	.loc	1 30 20                         ; matmul.py:30:20
	s_and_saveexec_b32 s3, vcc_lo
	s_cbranch_execz .LBB0_71
; %bb.70:
	.loc	1 33 18 is_stmt 1               ; matmul.py:33:18
	s_lshl_b64 s[14:15], s[10:11], 1
	s_delay_alu instid0(SALU_CYCLE_1) | instskip(NEXT) | instid1(VALU_DEP_1)
	v_add_co_u32 v1, s2, v37, s14
	v_add_co_ci_u32_e64 v2, null, s15, v38, s2
	.loc	1 30 20                         ; matmul.py:30:20
	global_load_u16 v195, v[1:2], off
.LBB0_71:
	.loc	1 0 20 is_stmt 0                ; matmul.py:0:20
	s_or_b32 exec_lo, exec_lo, s3
	.loc	1 30 20                         ; matmul.py:30:20
	s_and_saveexec_b32 s3, vcc_lo
	s_cbranch_execz .LBB0_73
; %bb.72:
	.loc	1 33 18 is_stmt 1               ; matmul.py:33:18
	s_lshl_b64 s[14:15], s[10:11], 1
	s_delay_alu instid0(SALU_CYCLE_1) | instskip(NEXT) | instid1(VALU_DEP_1)
	v_add_co_u32 v1, s2, v39, s14
	v_add_co_ci_u32_e64 v2, null, s15, v40, s2
	.loc	1 30 20                         ; matmul.py:30:20
	global_load_u16 v194, v[1:2], off
.LBB0_73:
	.loc	1 0 20 is_stmt 0                ; matmul.py:0:20
	s_or_b32 exec_lo, exec_lo, s3
	v_dual_mov_b32 v196, 0 :: v_dual_mov_b32 v197, 0
	.loc	1 30 20                         ; matmul.py:30:20
	s_and_saveexec_b32 s3, vcc_lo
	s_cbranch_execz .LBB0_75
; %bb.74:
	.loc	1 33 18 is_stmt 1               ; matmul.py:33:18
	s_lshl_b64 s[14:15], s[10:11], 1
	s_delay_alu instid0(SALU_CYCLE_1) | instskip(NEXT) | instid1(VALU_DEP_1)
	v_add_co_u32 v1, s2, v41, s14
	v_add_co_ci_u32_e64 v2, null, s15, v42, s2
	.loc	1 30 20                         ; matmul.py:30:20
	global_load_u16 v197, v[1:2], off
.LBB0_75:
	;; [unrolled: 29-line block ×7, first 2 shown]
	.loc	1 0 20 is_stmt 0                ; matmul.py:0:20
	s_or_b32 exec_lo, exec_lo, s3
	.loc	1 30 20                         ; matmul.py:30:20
	s_and_saveexec_b32 s2, vcc_lo
	s_cbranch_execz .LBB0_97
; %bb.96:
	.loc	1 33 18 is_stmt 1               ; matmul.py:33:18
	s_lshl_b64 s[14:15], s[10:11], 1
	s_delay_alu instid0(SALU_CYCLE_1) | instskip(NEXT) | instid1(VALU_DEP_1)
	v_add_co_u32 v1, vcc_lo, v63, s14
	v_add_co_ci_u32_e64 v2, null, s15, v64, vcc_lo
	.loc	1 30 20                         ; matmul.py:30:20
	global_load_u16 v206, v[1:2], off
.LBB0_97:
	.loc	1 0 20 is_stmt 0                ; matmul.py:0:20
	s_or_b32 exec_lo, exec_lo, s2
	v_dual_mov_b32 v208, 0 :: v_dual_lshlrev_b32 v1, 3, v0
	v_dual_mov_b32 v209, 0 :: v_dual_lshlrev_b32 v2, 6, v165
	v_lshlrev_b32_e32 v3, 4, v164
	s_delay_alu instid0(VALU_DEP_3)
	v_and_b32_e32 v1, 48, v1
	.loc	1 30 20                         ; matmul.py:30:20
	s_waitcnt vmcnt(0) lgkmcnt(0)
	s_barrier
	buffer_gl0_inv
	.loc	1 34 33 is_stmt 1               ; matmul.py:34:33
	s_lshl_b32 s2, s8, 5
	v_or3_b32 v1, v2, v1, v3
	s_ashr_i32 s3, s2, 31
	.loc	1 31 20                         ; matmul.py:31:20
	s_mov_b32 s8, exec_lo
	s_delay_alu instid0(VALU_DEP_1)
	v_xor_b32_e32 v2, 16, v1
	v_xor_b32_e32 v3, 32, v1
	.loc	1 30 20                         ; matmul.py:30:20
	v_add_nc_u32_e32 v188, 0, v1
	v_xor_b32_e32 v1, 48, v1
	ds_load_b128 v[57:60], v188
	ds_load_b128 v[49:52], v188 offset:2048
	v_add_nc_u32_e32 v189, 0, v2
	v_add_nc_u32_e32 v190, 0, v3
	v_add_nc_u32_e32 v191, 0, v1
	ds_load_b128 v[61:64], v189
	ds_load_b128 v[53:56], v189 offset:2048
	ds_load_b128 v[33:36], v190
	ds_load_b128 v[41:44], v190 offset:2048
	;; [unrolled: 2-line block ×3, first 2 shown]
	.loc	1 31 51                         ; matmul.py:31:51
	v_cmpx_gt_u32_e64 s9, v167
	.loc	1 31 20 is_stmt 0               ; matmul.py:31:20
	s_cbranch_execz .LBB0_99
; %bb.98:
	.loc	1 34 18 is_stmt 1               ; matmul.py:34:18
	s_lshl_b64 s[14:15], s[2:3], 1
	s_delay_alu instid0(SALU_CYCLE_1) | instskip(NEXT) | instid1(VALU_DEP_1)
	v_add_co_u32 v1, vcc_lo, v129, s14
	v_add_co_ci_u32_e64 v2, null, s15, v130, vcc_lo
	.loc	1 31 20                         ; matmul.py:31:20
	global_load_u16 v209, v[1:2], off
.LBB0_99:
	.loc	1 0 20 is_stmt 0                ; matmul.py:0:20
	s_or_b32 exec_lo, exec_lo, s8
	s_delay_alu instid0(SALU_CYCLE_1)
	.loc	1 31 20                         ; matmul.py:31:20
	s_mov_b32 s8, exec_lo
	.loc	1 31 51                         ; matmul.py:31:51
	v_cmpx_gt_u32_e64 s9, v168
	.loc	1 31 20                         ; matmul.py:31:20
	s_cbranch_execz .LBB0_101
; %bb.100:
	.loc	1 34 18 is_stmt 1               ; matmul.py:34:18
	s_lshl_b64 s[14:15], s[2:3], 1
	s_delay_alu instid0(SALU_CYCLE_1) | instskip(NEXT) | instid1(VALU_DEP_1)
	v_add_co_u32 v1, vcc_lo, v131, s14
	v_add_co_ci_u32_e64 v2, null, s15, v132, vcc_lo
	.loc	1 31 20                         ; matmul.py:31:20
	global_load_u16 v208, v[1:2], off
.LBB0_101:
	.loc	1 0 20 is_stmt 0                ; matmul.py:0:20
	s_or_b32 exec_lo, exec_lo, s8
	v_dual_mov_b32 v130, 0 :: v_dual_mov_b32 v131, 0
	.loc	1 31 20                         ; matmul.py:31:20
	s_mov_b32 s8, exec_lo
	.loc	1 31 51                         ; matmul.py:31:51
	v_cmpx_gt_u32_e64 s9, v169
	.loc	1 31 20                         ; matmul.py:31:20
	s_cbranch_execz .LBB0_103
; %bb.102:
	.loc	1 34 18 is_stmt 1               ; matmul.py:34:18
	s_lshl_b64 s[14:15], s[2:3], 1
	s_delay_alu instid0(SALU_CYCLE_1) | instskip(NEXT) | instid1(VALU_DEP_1)
	v_add_co_u32 v1, vcc_lo, v133, s14
	v_add_co_ci_u32_e64 v2, null, s15, v134, vcc_lo
	.loc	1 31 20                         ; matmul.py:31:20
	global_load_u16 v131, v[1:2], off
.LBB0_103:
	.loc	1 0 20 is_stmt 0                ; matmul.py:0:20
	s_or_b32 exec_lo, exec_lo, s8
	s_delay_alu instid0(SALU_CYCLE_1)
	.loc	1 31 20                         ; matmul.py:31:20
	s_mov_b32 s8, exec_lo
	.loc	1 31 51                         ; matmul.py:31:51
	v_cmpx_gt_u32_e64 s9, v170
	.loc	1 31 20                         ; matmul.py:31:20
	s_cbranch_execz .LBB0_105
; %bb.104:
	.loc	1 34 18 is_stmt 1               ; matmul.py:34:18
	s_lshl_b64 s[14:15], s[2:3], 1
	s_delay_alu instid0(SALU_CYCLE_1) | instskip(NEXT) | instid1(VALU_DEP_1)
	v_add_co_u32 v1, vcc_lo, v135, s14
	v_add_co_ci_u32_e64 v2, null, s15, v136, vcc_lo
	.loc	1 31 20                         ; matmul.py:31:20
	global_load_u16 v130, v[1:2], off
.LBB0_105:
	.loc	1 0 20 is_stmt 0                ; matmul.py:0:20
	s_or_b32 exec_lo, exec_lo, s8
	v_dual_mov_b32 v132, 0 :: v_dual_mov_b32 v133, 0
	.loc	1 31 20                         ; matmul.py:31:20
	s_mov_b32 s8, exec_lo
	.loc	1 31 51                         ; matmul.py:31:51
	v_cmpx_gt_u32_e64 s9, v171
	.loc	1 31 20                         ; matmul.py:31:20
	;; [unrolled: 36-line block ×7, first 2 shown]
	s_cbranch_execz .LBB0_127
; %bb.126:
	.loc	1 34 18 is_stmt 1               ; matmul.py:34:18
	s_lshl_b64 s[14:15], s[2:3], 1
	s_delay_alu instid0(SALU_CYCLE_1) | instskip(NEXT) | instid1(VALU_DEP_1)
	v_add_co_u32 v1, vcc_lo, v157, s14
	v_add_co_ci_u32_e64 v2, null, s15, v158, vcc_lo
	.loc	1 31 20                         ; matmul.py:31:20
	global_load_u16 v143, v[1:2], off
.LBB0_127:
	.loc	1 0 20 is_stmt 0                ; matmul.py:0:20
	s_or_b32 exec_lo, exec_lo, s8
	s_delay_alu instid0(SALU_CYCLE_1)
	.loc	1 31 20                         ; matmul.py:31:20
	s_mov_b32 s8, exec_lo
	.loc	1 31 51                         ; matmul.py:31:51
	v_cmpx_gt_u32_e64 s9, v182
	.loc	1 31 20                         ; matmul.py:31:20
	s_cbranch_execz .LBB0_129
; %bb.128:
	.loc	1 34 18 is_stmt 1               ; matmul.py:34:18
	s_lshl_b64 s[14:15], s[2:3], 1
	s_delay_alu instid0(SALU_CYCLE_1) | instskip(NEXT) | instid1(VALU_DEP_1)
	v_add_co_u32 v1, vcc_lo, v159, s14
	v_add_co_ci_u32_e64 v2, null, s15, v160, vcc_lo
	.loc	1 31 20                         ; matmul.py:31:20
	global_load_u16 v142, v[1:2], off
.LBB0_129:
	.loc	1 0 20 is_stmt 0                ; matmul.py:0:20
	s_or_b32 exec_lo, exec_lo, s8
	.loc	1 31 20                         ; matmul.py:31:20
	s_mov_b32 s24, 0
.Ltmp14:
	.loc	2 43 30 is_stmt 1               ; standard.py:43:30 @[ matmul.py:29:33 ]
	s_ashr_i32 s8, s13, 31
.Ltmp15:
	.loc	1 32 35                         ; matmul.py:32:35
	s_mov_b32 s25, s24
	s_mov_b32 s26, s24
	;; [unrolled: 1-line block ×7, first 2 shown]
	.loc	1 31 20                         ; matmul.py:31:20
	v_add_nc_u32_e32 v1, 0, v166
.Ltmp16:
	.loc	2 43 30                         ; standard.py:43:30 @[ matmul.py:29:33 ]
	s_lshr_b32 s8, s8, 27
	s_delay_alu instid0(SALU_CYCLE_1) | instskip(NEXT) | instid1(VALU_DEP_1)
	s_add_i32 s13, s13, s8
.Ltmp17:
	.loc	1 31 20                         ; matmul.py:31:20
	v_lshl_add_u32 v129, v165, 1, v1
	ds_load_u16 v149, v129 offset:5440
	ds_load_u16 v23, v129 offset:5632
	;; [unrolled: 1-line block ×21, first 2 shown]
	.loc	1 32 35                         ; matmul.py:32:35
	v_dual_mov_b32 v1, s24 :: v_dual_mov_b32 v4, s27
	v_dual_mov_b32 v2, s25 :: v_dual_mov_b32 v3, s26
	;; [unrolled: 1-line block ×4, first 2 shown]
.Ltmp18:
	.loc	2 43 30                         ; standard.py:43:30 @[ matmul.py:29:33 ]
	s_ashr_i32 s8, s13, 5
.Ltmp19:
	.loc	1 31 20                         ; matmul.py:31:20
	s_waitcnt lgkmcnt(19)
	ds_load_u16_d16_hi v23, v129 offset:5760
	ds_load_u16_d16_hi v149, v129 offset:5568
	s_waitcnt lgkmcnt(20)
	ds_load_u16_d16_hi v18, v129 offset:4480
	ds_load_u16 v146, v129 offset:4672
	ds_load_u16 v147, v129 offset:4928
	;; [unrolled: 1-line block ×3, first 2 shown]
	s_waitcnt lgkmcnt(19)
	ds_load_u16_d16_hi v17, v129 offset:4224
	s_waitcnt lgkmcnt(19)
	ds_load_u16_d16_hi v144, v129 offset:4288
	ds_load_u16 v145, v129 offset:4416
	s_waitcnt lgkmcnt(20)
	ds_load_u16_d16_hi v156, v129 offset:7296
	s_waitcnt lgkmcnt(20)
	ds_load_u16_d16_hi v213, v129 offset:7104
	;; [unrolled: 2-line block ×3, first 2 shown]
	ds_load_u16 v210, v129 offset:6208
	ds_load_u16 v211, v129 offset:6464
	;; [unrolled: 1-line block ×3, first 2 shown]
	s_waitcnt lgkmcnt(19)
	ds_load_u16_d16_hi v150, v129 offset:5824
	ds_load_u16 v151, v129 offset:5952
	s_waitcnt lgkmcnt(20)
	ds_load_u16_d16_hi v157, v129 offset:7552
	ds_load_u16 v216, v129 offset:7744
	ds_load_u16 v217, v129 offset:8000
	s_waitcnt lgkmcnt(20)
	ds_load_u16_d16_hi v214, v129 offset:7360
	ds_load_u16 v215, v129 offset:7488
	ds_load_u16_d16_hi v19, v129 offset:4736
	ds_load_u16_d16_hi v20, v129 offset:4992
	;; [unrolled: 1-line block ×4, first 2 shown]
	.loc	1 29 22                         ; matmul.py:29:22
	s_max_i32 s14, s8, 2
	.loc	1 31 20                         ; matmul.py:31:20
	s_waitcnt lgkmcnt(20)
	ds_load_u16_d16_hi v148, v129 offset:5312
	ds_load_u16_d16_hi v147, v129 offset:5056
	;; [unrolled: 1-line block ×3, first 2 shown]
	s_waitcnt lgkmcnt(20)
	ds_load_u16_d16_hi v145, v129 offset:4544
	ds_load_u16_d16_hi v152, v129 offset:6272
	ds_load_u16_d16_hi v153, v129 offset:6528
	ds_load_u16_d16_hi v154, v129 offset:6784
	ds_load_u16_d16_hi v155, v129 offset:7040
	s_waitcnt lgkmcnt(19)
	ds_load_u16_d16_hi v212, v129 offset:6848
	ds_load_u16_d16_hi v211, v129 offset:6592
	;; [unrolled: 1-line block ×3, first 2 shown]
	s_waitcnt lgkmcnt(20)
	ds_load_u16_d16_hi v151, v129 offset:6080
	ds_load_u16_d16_hi v158, v129 offset:7808
	;; [unrolled: 1-line block ×3, first 2 shown]
	s_waitcnt lgkmcnt(20)
	ds_load_u16_d16_hi v217, v129 offset:8128
	ds_load_u16_d16_hi v216, v129 offset:7872
	s_waitcnt lgkmcnt(20)
	ds_load_u16_d16_hi v215, v129 offset:7616
	.loc	1 29 22                         ; matmul.py:29:22
	s_cmp_eq_u32 s14, 2
	.loc	1 32 35                         ; matmul.py:32:35
	s_waitcnt lgkmcnt(17)
	v_wmma_f32_16x16x16_f16 v[25:32], v[17:24], v[57:64], v[1:8]
	v_wmma_f32_16x16x16_f16 v[9:16], v[17:24], v[49:56], v[1:8]
	s_waitcnt lgkmcnt(5)
	v_wmma_f32_16x16x16_f16 v[17:24], v[144:151], v[57:64], v[1:8]
	v_wmma_f32_16x16x16_f16 v[1:8], v[144:151], v[49:56], v[1:8]
	;; [unrolled: 3-line block ×4, first 2 shown]
	.loc	1 30 20                         ; matmul.py:30:20
	s_waitcnt vmcnt(0)
	s_barrier
	buffer_gl0_inv
	ds_store_b16 v183, v193
	ds_store_b16 v183, v195 offset:512
	ds_store_b16 v183, v197 offset:1024
	;; [unrolled: 1-line block ×15, first 2 shown]
	.loc	1 31 20                         ; matmul.py:31:20
	ds_store_b16 v185, v209 offset:4096
	ds_store_b16 v185, v208 offset:4352
	;; [unrolled: 1-line block ×16, first 2 shown]
	.loc	1 29 22                         ; matmul.py:29:22
	s_cbranch_scc1 .LBB0_196
; %bb.130:                              ; %.peel.next
	s_lshl_b64 s[8:9], s[2:3], 2
	s_delay_alu instid0(SALU_CYCLE_1)
	s_add_u32 s8, s6, s8
	s_addc_u32 s9, s7, s9
	s_lshl_b64 s[22:23], s[10:11], 2
	s_lshl_b64 s[6:7], s[2:3], 1
	s_add_u32 s3, s4, s22
	s_addc_u32 s13, s5, s23
	s_lshl_b64 s[4:5], s[10:11], 1
	s_add_i32 s10, s14, -2
	s_sub_i32 s11, s18, 64
	s_branch .LBB0_132
.LBB0_131:                              ;   in Loop: Header=BB0_132 Depth=1
	.loc	1 0 22 is_stmt 0                ; matmul.py:0:22
	s_or_b32 exec_lo, exec_lo, s2
	.loc	1 31 20 is_stmt 1               ; matmul.py:31:20
	ds_load_u16 v198, v129 offset:5440
	ds_load_u16 v207, v129 offset:5632
	;; [unrolled: 1-line block ×21, first 2 shown]
	.loc	1 29 22                         ; matmul.py:29:22
	s_add_u32 s8, s8, s6
	s_addc_u32 s9, s9, s7
	s_add_u32 s3, s3, s4
	s_addc_u32 s13, s13, s5
	s_add_i32 s10, s10, -1
	s_sub_i32 s11, s11, 32
	s_cmp_lg_u32 s10, 0
	.loc	1 31 20                         ; matmul.py:31:20
	s_waitcnt lgkmcnt(19)
	ds_load_u16_d16_hi v207, v129 offset:5760
	ds_load_u16_d16_hi v198, v129 offset:5568
	s_waitcnt lgkmcnt(20)
	ds_load_u16_d16_hi v202, v129 offset:4480
	ds_load_u16 v195, v129 offset:4672
	ds_load_u16 v196, v129 offset:4928
	;; [unrolled: 1-line block ×3, first 2 shown]
	s_waitcnt lgkmcnt(19)
	ds_load_u16_d16_hi v201, v129 offset:4224
	s_waitcnt lgkmcnt(19)
	ds_load_u16_d16_hi v193, v129 offset:4288
	ds_load_u16 v194, v129 offset:4416
	s_waitcnt lgkmcnt(20)
	ds_load_u16_d16_hi v213, v129 offset:7296
	s_waitcnt lgkmcnt(20)
	ds_load_u16_d16_hi v220, v129 offset:7104
	;; [unrolled: 2-line block ×3, first 2 shown]
	ds_load_u16 v217, v129 offset:6208
	ds_load_u16 v218, v129 offset:6464
	;; [unrolled: 1-line block ×3, first 2 shown]
	s_waitcnt lgkmcnt(19)
	ds_load_u16_d16_hi v199, v129 offset:5824
	ds_load_u16 v200, v129 offset:5952
	s_waitcnt lgkmcnt(20)
	ds_load_u16_d16_hi v214, v129 offset:7552
	ds_load_u16 v223, v129 offset:7744
	ds_load_u16 v224, v129 offset:8000
	s_waitcnt lgkmcnt(20)
	ds_load_u16_d16_hi v221, v129 offset:7360
	ds_load_u16 v222, v129 offset:7488
	ds_load_u16_d16_hi v203, v129 offset:4736
	ds_load_u16_d16_hi v204, v129 offset:4992
	;; [unrolled: 1-line block ×4, first 2 shown]
	s_waitcnt lgkmcnt(20)
	ds_load_u16_d16_hi v197, v129 offset:5312
	ds_load_u16_d16_hi v196, v129 offset:5056
	;; [unrolled: 1-line block ×3, first 2 shown]
	s_waitcnt lgkmcnt(20)
	ds_load_u16_d16_hi v194, v129 offset:4544
	ds_load_u16_d16_hi v209, v129 offset:6272
	;; [unrolled: 1-line block ×5, first 2 shown]
	s_waitcnt lgkmcnt(19)
	ds_load_u16_d16_hi v219, v129 offset:6848
	ds_load_u16_d16_hi v218, v129 offset:6592
	;; [unrolled: 1-line block ×3, first 2 shown]
	s_waitcnt lgkmcnt(20)
	ds_load_u16_d16_hi v200, v129 offset:6080
	ds_load_u16_d16_hi v215, v129 offset:7808
	;; [unrolled: 1-line block ×3, first 2 shown]
	s_waitcnt lgkmcnt(20)
	ds_load_u16_d16_hi v224, v129 offset:8128
	ds_load_u16_d16_hi v223, v129 offset:7872
	s_waitcnt lgkmcnt(20)
	ds_load_u16_d16_hi v222, v129 offset:7616
	.loc	1 32 35                         ; matmul.py:32:35
	s_waitcnt lgkmcnt(17)
	v_wmma_f32_16x16x16_f16 v[25:32], v[201:208], v[49:56], v[25:32]
	v_wmma_f32_16x16x16_f16 v[9:16], v[201:208], v[57:64], v[9:16]
	s_waitcnt lgkmcnt(5)
	v_wmma_f32_16x16x16_f16 v[17:24], v[193:200], v[49:56], v[17:24]
	v_wmma_f32_16x16x16_f16 v[1:8], v[193:200], v[57:64], v[1:8]
	;; [unrolled: 3-line block ×4, first 2 shown]
	.loc	1 30 20                         ; matmul.py:30:20
	s_waitcnt vmcnt(0)
	s_barrier
	buffer_gl0_inv
	ds_store_b16 v183, v131
	ds_store_b16 v183, v133 offset:512
	ds_store_b16 v183, v135 offset:1024
	;; [unrolled: 1-line block ×15, first 2 shown]
	.loc	1 31 20                         ; matmul.py:31:20
	ds_store_b16 v185, v147 offset:4096
	ds_store_b16 v185, v146 offset:4352
	;; [unrolled: 1-line block ×16, first 2 shown]
	.loc	1 29 22                         ; matmul.py:29:22
	s_cbranch_scc0 .LBB0_196
.LBB0_132:                              ; =>This Inner Loop Header: Depth=1
	.loc	1 30 51                         ; matmul.py:30:51
	v_cmp_gt_i32_e32 vcc_lo, s11, v163
	v_dual_mov_b32 v130, 0 :: v_dual_mov_b32 v131, 0
	.loc	1 30 20 is_stmt 0               ; matmul.py:30:20
	s_and_saveexec_b32 s14, vcc_lo
	s_cbranch_execz .LBB0_134
; %bb.133:                              ;   in Loop: Header=BB0_132 Depth=1
	.loc	1 33 18 is_stmt 1               ; matmul.py:33:18
	v_add_co_u32 v33, s2, s3, v65
	s_delay_alu instid0(VALU_DEP_1)
	v_add_co_ci_u32_e64 v34, null, s13, v66, s2
	.loc	1 30 20                         ; matmul.py:30:20
	global_load_u16 v131, v[33:34], off
.LBB0_134:                              ;   in Loop: Header=BB0_132 Depth=1
	.loc	1 0 20 is_stmt 0                ; matmul.py:0:20
	s_or_b32 exec_lo, exec_lo, s14
	.loc	1 30 20                         ; matmul.py:30:20
	s_and_saveexec_b32 s14, vcc_lo
	s_cbranch_execz .LBB0_136
; %bb.135:                              ;   in Loop: Header=BB0_132 Depth=1
	.loc	1 33 18 is_stmt 1               ; matmul.py:33:18
	v_add_co_u32 v33, s2, s3, v67
	s_delay_alu instid0(VALU_DEP_1)
	v_add_co_ci_u32_e64 v34, null, s13, v68, s2
	.loc	1 30 20                         ; matmul.py:30:20
	global_load_u16 v130, v[33:34], off
.LBB0_136:                              ;   in Loop: Header=BB0_132 Depth=1
	.loc	1 0 20 is_stmt 0                ; matmul.py:0:20
	s_or_b32 exec_lo, exec_lo, s14
	v_dual_mov_b32 v132, 0 :: v_dual_mov_b32 v133, 0
	.loc	1 30 20                         ; matmul.py:30:20
	s_and_saveexec_b32 s14, vcc_lo
	s_cbranch_execz .LBB0_138
; %bb.137:                              ;   in Loop: Header=BB0_132 Depth=1
	.loc	1 33 18 is_stmt 1               ; matmul.py:33:18
	v_add_co_u32 v33, s2, s3, v69
	s_delay_alu instid0(VALU_DEP_1)
	v_add_co_ci_u32_e64 v34, null, s13, v70, s2
	.loc	1 30 20                         ; matmul.py:30:20
	global_load_u16 v133, v[33:34], off
.LBB0_138:                              ;   in Loop: Header=BB0_132 Depth=1
	.loc	1 0 20 is_stmt 0                ; matmul.py:0:20
	s_or_b32 exec_lo, exec_lo, s14
	.loc	1 30 20                         ; matmul.py:30:20
	s_and_saveexec_b32 s14, vcc_lo
	s_cbranch_execz .LBB0_140
; %bb.139:                              ;   in Loop: Header=BB0_132 Depth=1
	.loc	1 33 18 is_stmt 1               ; matmul.py:33:18
	v_add_co_u32 v33, s2, s3, v71
	s_delay_alu instid0(VALU_DEP_1)
	v_add_co_ci_u32_e64 v34, null, s13, v72, s2
	.loc	1 30 20                         ; matmul.py:30:20
	global_load_u16 v132, v[33:34], off
.LBB0_140:                              ;   in Loop: Header=BB0_132 Depth=1
	.loc	1 0 20 is_stmt 0                ; matmul.py:0:20
	s_or_b32 exec_lo, exec_lo, s14
	v_dual_mov_b32 v134, 0 :: v_dual_mov_b32 v135, 0
	.loc	1 30 20                         ; matmul.py:30:20
	s_and_saveexec_b32 s14, vcc_lo
	s_cbranch_execz .LBB0_142
; %bb.141:                              ;   in Loop: Header=BB0_132 Depth=1
	.loc	1 33 18 is_stmt 1               ; matmul.py:33:18
	v_add_co_u32 v33, s2, s3, v73
	s_delay_alu instid0(VALU_DEP_1)
	v_add_co_ci_u32_e64 v34, null, s13, v74, s2
	.loc	1 30 20                         ; matmul.py:30:20
	global_load_u16 v135, v[33:34], off
.LBB0_142:                              ;   in Loop: Header=BB0_132 Depth=1
	.loc	1 0 20 is_stmt 0                ; matmul.py:0:20
	s_or_b32 exec_lo, exec_lo, s14
	.loc	1 30 20                         ; matmul.py:30:20
	s_and_saveexec_b32 s14, vcc_lo
	s_cbranch_execz .LBB0_144
; %bb.143:                              ;   in Loop: Header=BB0_132 Depth=1
	.loc	1 33 18 is_stmt 1               ; matmul.py:33:18
	v_add_co_u32 v33, s2, s3, v75
	s_delay_alu instid0(VALU_DEP_1)
	v_add_co_ci_u32_e64 v34, null, s13, v76, s2
	.loc	1 30 20                         ; matmul.py:30:20
	global_load_u16 v134, v[33:34], off
.LBB0_144:                              ;   in Loop: Header=BB0_132 Depth=1
	.loc	1 0 20 is_stmt 0                ; matmul.py:0:20
	s_or_b32 exec_lo, exec_lo, s14
	v_dual_mov_b32 v136, 0 :: v_dual_mov_b32 v137, 0
	.loc	1 30 20                         ; matmul.py:30:20
	s_and_saveexec_b32 s14, vcc_lo
	s_cbranch_execz .LBB0_146
; %bb.145:                              ;   in Loop: Header=BB0_132 Depth=1
	.loc	1 33 18 is_stmt 1               ; matmul.py:33:18
	v_add_co_u32 v33, s2, s3, v77
	s_delay_alu instid0(VALU_DEP_1)
	v_add_co_ci_u32_e64 v34, null, s13, v78, s2
	.loc	1 30 20                         ; matmul.py:30:20
	global_load_u16 v137, v[33:34], off
.LBB0_146:                              ;   in Loop: Header=BB0_132 Depth=1
	.loc	1 0 20 is_stmt 0                ; matmul.py:0:20
	s_or_b32 exec_lo, exec_lo, s14
	.loc	1 30 20                         ; matmul.py:30:20
	s_and_saveexec_b32 s14, vcc_lo
	s_cbranch_execz .LBB0_148
; %bb.147:                              ;   in Loop: Header=BB0_132 Depth=1
	.loc	1 33 18 is_stmt 1               ; matmul.py:33:18
	v_add_co_u32 v33, s2, s3, v79
	s_delay_alu instid0(VALU_DEP_1)
	v_add_co_ci_u32_e64 v34, null, s13, v80, s2
	.loc	1 30 20                         ; matmul.py:30:20
	global_load_u16 v136, v[33:34], off
.LBB0_148:                              ;   in Loop: Header=BB0_132 Depth=1
	.loc	1 0 20 is_stmt 0                ; matmul.py:0:20
	s_or_b32 exec_lo, exec_lo, s14
	v_dual_mov_b32 v138, 0 :: v_dual_mov_b32 v139, 0
	.loc	1 30 20                         ; matmul.py:30:20
	s_and_saveexec_b32 s14, vcc_lo
	s_cbranch_execz .LBB0_150
; %bb.149:                              ;   in Loop: Header=BB0_132 Depth=1
	.loc	1 33 18 is_stmt 1               ; matmul.py:33:18
	v_add_co_u32 v33, s2, s3, v81
	s_delay_alu instid0(VALU_DEP_1)
	v_add_co_ci_u32_e64 v34, null, s13, v82, s2
	.loc	1 30 20                         ; matmul.py:30:20
	global_load_u16 v139, v[33:34], off
.LBB0_150:                              ;   in Loop: Header=BB0_132 Depth=1
	.loc	1 0 20 is_stmt 0                ; matmul.py:0:20
	s_or_b32 exec_lo, exec_lo, s14
	.loc	1 30 20                         ; matmul.py:30:20
	s_and_saveexec_b32 s14, vcc_lo
	s_cbranch_execz .LBB0_152
; %bb.151:                              ;   in Loop: Header=BB0_132 Depth=1
	.loc	1 33 18 is_stmt 1               ; matmul.py:33:18
	v_add_co_u32 v33, s2, s3, v83
	s_delay_alu instid0(VALU_DEP_1)
	v_add_co_ci_u32_e64 v34, null, s13, v84, s2
	.loc	1 30 20                         ; matmul.py:30:20
	global_load_u16 v138, v[33:34], off
.LBB0_152:                              ;   in Loop: Header=BB0_132 Depth=1
	.loc	1 0 20 is_stmt 0                ; matmul.py:0:20
	s_or_b32 exec_lo, exec_lo, s14
	v_dual_mov_b32 v140, 0 :: v_dual_mov_b32 v141, 0
	.loc	1 30 20                         ; matmul.py:30:20
	s_and_saveexec_b32 s14, vcc_lo
	s_cbranch_execz .LBB0_154
; %bb.153:                              ;   in Loop: Header=BB0_132 Depth=1
	.loc	1 33 18 is_stmt 1               ; matmul.py:33:18
	v_add_co_u32 v33, s2, s3, v85
	s_delay_alu instid0(VALU_DEP_1)
	v_add_co_ci_u32_e64 v34, null, s13, v86, s2
	.loc	1 30 20                         ; matmul.py:30:20
	global_load_u16 v141, v[33:34], off
.LBB0_154:                              ;   in Loop: Header=BB0_132 Depth=1
	.loc	1 0 20 is_stmt 0                ; matmul.py:0:20
	s_or_b32 exec_lo, exec_lo, s14
	.loc	1 30 20                         ; matmul.py:30:20
	s_and_saveexec_b32 s14, vcc_lo
	s_cbranch_execz .LBB0_156
; %bb.155:                              ;   in Loop: Header=BB0_132 Depth=1
	.loc	1 33 18 is_stmt 1               ; matmul.py:33:18
	v_add_co_u32 v33, s2, s3, v87
	s_delay_alu instid0(VALU_DEP_1)
	v_add_co_ci_u32_e64 v34, null, s13, v88, s2
	.loc	1 30 20                         ; matmul.py:30:20
	global_load_u16 v140, v[33:34], off
.LBB0_156:                              ;   in Loop: Header=BB0_132 Depth=1
	.loc	1 0 20 is_stmt 0                ; matmul.py:0:20
	s_or_b32 exec_lo, exec_lo, s14
	v_dual_mov_b32 v142, 0 :: v_dual_mov_b32 v143, 0
	.loc	1 30 20                         ; matmul.py:30:20
	s_and_saveexec_b32 s14, vcc_lo
	s_cbranch_execz .LBB0_158
; %bb.157:                              ;   in Loop: Header=BB0_132 Depth=1
	.loc	1 33 18 is_stmt 1               ; matmul.py:33:18
	v_add_co_u32 v33, s2, s3, v89
	s_delay_alu instid0(VALU_DEP_1)
	v_add_co_ci_u32_e64 v34, null, s13, v90, s2
	.loc	1 30 20                         ; matmul.py:30:20
	global_load_u16 v143, v[33:34], off
.LBB0_158:                              ;   in Loop: Header=BB0_132 Depth=1
	.loc	1 0 20 is_stmt 0                ; matmul.py:0:20
	s_or_b32 exec_lo, exec_lo, s14
	.loc	1 30 20                         ; matmul.py:30:20
	s_and_saveexec_b32 s14, vcc_lo
	s_cbranch_execz .LBB0_160
; %bb.159:                              ;   in Loop: Header=BB0_132 Depth=1
	.loc	1 33 18 is_stmt 1               ; matmul.py:33:18
	v_add_co_u32 v33, s2, s3, v91
	s_delay_alu instid0(VALU_DEP_1)
	v_add_co_ci_u32_e64 v34, null, s13, v92, s2
	.loc	1 30 20                         ; matmul.py:30:20
	global_load_u16 v142, v[33:34], off
.LBB0_160:                              ;   in Loop: Header=BB0_132 Depth=1
	.loc	1 0 20 is_stmt 0                ; matmul.py:0:20
	s_or_b32 exec_lo, exec_lo, s14
	v_dual_mov_b32 v144, 0 :: v_dual_mov_b32 v145, 0
	.loc	1 30 20                         ; matmul.py:30:20
	s_and_saveexec_b32 s14, vcc_lo
	s_cbranch_execz .LBB0_162
; %bb.161:                              ;   in Loop: Header=BB0_132 Depth=1
	.loc	1 33 18 is_stmt 1               ; matmul.py:33:18
	v_add_co_u32 v33, s2, s3, v93
	s_delay_alu instid0(VALU_DEP_1)
	v_add_co_ci_u32_e64 v34, null, s13, v94, s2
	.loc	1 30 20                         ; matmul.py:30:20
	global_load_u16 v145, v[33:34], off
.LBB0_162:                              ;   in Loop: Header=BB0_132 Depth=1
	.loc	1 0 20 is_stmt 0                ; matmul.py:0:20
	s_or_b32 exec_lo, exec_lo, s14
	.loc	1 30 20                         ; matmul.py:30:20
	s_and_saveexec_b32 s2, vcc_lo
	s_cbranch_execz .LBB0_164
; %bb.163:                              ;   in Loop: Header=BB0_132 Depth=1
	.loc	1 34 18 is_stmt 1               ; matmul.py:34:18
	v_add_co_u32 v33, vcc_lo, s3, v95
	s_delay_alu instid0(VALU_DEP_1)
	v_add_co_ci_u32_e64 v34, null, s13, v96, vcc_lo
	.loc	1 30 20                         ; matmul.py:30:20
	global_load_u16 v144, v[33:34], off
.LBB0_164:                              ;   in Loop: Header=BB0_132 Depth=1
	.loc	1 0 20 is_stmt 0                ; matmul.py:0:20
	s_or_b32 exec_lo, exec_lo, s2
	.loc	1 30 20                         ; matmul.py:30:20
	s_waitcnt vmcnt(0) lgkmcnt(0)
	s_barrier
	buffer_gl0_inv
	ds_load_b128 v[49:52], v188
	ds_load_b128 v[57:60], v188 offset:2048
	ds_load_b128 v[53:56], v189
	ds_load_b128 v[61:64], v189 offset:2048
	ds_load_b128 v[33:36], v190
	ds_load_b128 v[41:44], v190 offset:2048
	ds_load_b128 v[37:40], v191
	ds_load_b128 v[45:48], v191 offset:2048
	v_dual_mov_b32 v146, 0 :: v_dual_mov_b32 v147, 0
	.loc	1 31 20 is_stmt 1               ; matmul.py:31:20
	s_mov_b32 s2, exec_lo
	.loc	1 31 51 is_stmt 0               ; matmul.py:31:51
	v_cmpx_gt_i32_e64 s11, v167
	.loc	1 31 20                         ; matmul.py:31:20
	s_cbranch_execz .LBB0_166
; %bb.165:                              ;   in Loop: Header=BB0_132 Depth=1
	.loc	1 34 18 is_stmt 1               ; matmul.py:34:18
	v_add_co_u32 v147, vcc_lo, s8, v97
	s_delay_alu instid0(VALU_DEP_1)
	v_add_co_ci_u32_e64 v148, null, s9, v98, vcc_lo
	.loc	1 31 20                         ; matmul.py:31:20
	global_load_u16 v147, v[147:148], off
.LBB0_166:                              ;   in Loop: Header=BB0_132 Depth=1
	.loc	1 0 20 is_stmt 0                ; matmul.py:0:20
	s_or_b32 exec_lo, exec_lo, s2
	s_delay_alu instid0(SALU_CYCLE_1)
	.loc	1 31 20                         ; matmul.py:31:20
	s_mov_b32 s2, exec_lo
	.loc	1 31 51                         ; matmul.py:31:51
	v_cmpx_gt_i32_e64 s11, v168
	.loc	1 31 20                         ; matmul.py:31:20
	s_cbranch_execz .LBB0_168
; %bb.167:                              ;   in Loop: Header=BB0_132 Depth=1
	.loc	1 34 18 is_stmt 1               ; matmul.py:34:18
	v_add_co_u32 v148, vcc_lo, s8, v99
	s_delay_alu instid0(VALU_DEP_1)
	v_add_co_ci_u32_e64 v149, null, s9, v100, vcc_lo
	.loc	1 31 20                         ; matmul.py:31:20
	global_load_u16 v146, v[148:149], off
.LBB0_168:                              ;   in Loop: Header=BB0_132 Depth=1
	.loc	1 0 20 is_stmt 0                ; matmul.py:0:20
	s_or_b32 exec_lo, exec_lo, s2
	v_dual_mov_b32 v148, 0 :: v_dual_mov_b32 v149, 0
	.loc	1 31 20                         ; matmul.py:31:20
	s_mov_b32 s2, exec_lo
	.loc	1 31 51                         ; matmul.py:31:51
	v_cmpx_gt_i32_e64 s11, v169
	.loc	1 31 20                         ; matmul.py:31:20
	s_cbranch_execz .LBB0_170
; %bb.169:                              ;   in Loop: Header=BB0_132 Depth=1
	.loc	1 34 18 is_stmt 1               ; matmul.py:34:18
	v_add_co_u32 v149, vcc_lo, s8, v101
	s_delay_alu instid0(VALU_DEP_1)
	v_add_co_ci_u32_e64 v150, null, s9, v102, vcc_lo
	.loc	1 31 20                         ; matmul.py:31:20
	global_load_u16 v149, v[149:150], off
.LBB0_170:                              ;   in Loop: Header=BB0_132 Depth=1
	.loc	1 0 20 is_stmt 0                ; matmul.py:0:20
	s_or_b32 exec_lo, exec_lo, s2
	s_delay_alu instid0(SALU_CYCLE_1)
	.loc	1 31 20                         ; matmul.py:31:20
	s_mov_b32 s2, exec_lo
	.loc	1 31 51                         ; matmul.py:31:51
	v_cmpx_gt_i32_e64 s11, v170
	.loc	1 31 20                         ; matmul.py:31:20
	s_cbranch_execz .LBB0_172
; %bb.171:                              ;   in Loop: Header=BB0_132 Depth=1
	.loc	1 34 18 is_stmt 1               ; matmul.py:34:18
	v_add_co_u32 v150, vcc_lo, s8, v103
	s_delay_alu instid0(VALU_DEP_1)
	v_add_co_ci_u32_e64 v151, null, s9, v104, vcc_lo
	.loc	1 31 20                         ; matmul.py:31:20
	global_load_u16 v148, v[150:151], off
.LBB0_172:                              ;   in Loop: Header=BB0_132 Depth=1
	.loc	1 0 20 is_stmt 0                ; matmul.py:0:20
	s_or_b32 exec_lo, exec_lo, s2
	v_dual_mov_b32 v150, 0 :: v_dual_mov_b32 v151, 0
	.loc	1 31 20                         ; matmul.py:31:20
	s_mov_b32 s2, exec_lo
	.loc	1 31 51                         ; matmul.py:31:51
	;; [unrolled: 34-line block ×6, first 2 shown]
	v_cmpx_gt_i32_e64 s11, v179
	.loc	1 31 20                         ; matmul.py:31:20
	s_cbranch_execz .LBB0_190
; %bb.189:                              ;   in Loop: Header=BB0_132 Depth=1
	.loc	1 34 18 is_stmt 1               ; matmul.py:34:18
	v_add_co_u32 v159, vcc_lo, s8, v121
	s_delay_alu instid0(VALU_DEP_1)
	v_add_co_ci_u32_e64 v160, null, s9, v122, vcc_lo
	.loc	1 31 20                         ; matmul.py:31:20
	global_load_u16 v159, v[159:160], off
.LBB0_190:                              ;   in Loop: Header=BB0_132 Depth=1
	.loc	1 0 20 is_stmt 0                ; matmul.py:0:20
	s_or_b32 exec_lo, exec_lo, s2
	s_delay_alu instid0(SALU_CYCLE_1)
	.loc	1 31 20                         ; matmul.py:31:20
	s_mov_b32 s2, exec_lo
	.loc	1 31 51                         ; matmul.py:31:51
	v_cmpx_gt_i32_e64 s11, v180
	.loc	1 31 20                         ; matmul.py:31:20
	s_cbranch_execz .LBB0_192
; %bb.191:                              ;   in Loop: Header=BB0_132 Depth=1
	.loc	1 34 18 is_stmt 1               ; matmul.py:34:18
	v_add_co_u32 v192, vcc_lo, s8, v123
	s_delay_alu instid0(VALU_DEP_1)
	v_add_co_ci_u32_e64 v193, null, s9, v124, vcc_lo
	.loc	1 31 20                         ; matmul.py:31:20
	global_load_u16 v158, v[192:193], off
.LBB0_192:                              ;   in Loop: Header=BB0_132 Depth=1
	.loc	1 0 20 is_stmt 0                ; matmul.py:0:20
	s_or_b32 exec_lo, exec_lo, s2
	v_mov_b32_e32 v160, 0
	v_mov_b32_e32 v192, 0
	.loc	1 31 20                         ; matmul.py:31:20
	s_mov_b32 s2, exec_lo
	.loc	1 31 51                         ; matmul.py:31:51
	v_cmpx_gt_i32_e64 s11, v181
	.loc	1 31 20                         ; matmul.py:31:20
	s_cbranch_execz .LBB0_194
; %bb.193:                              ;   in Loop: Header=BB0_132 Depth=1
	.loc	1 34 18 is_stmt 1               ; matmul.py:34:18
	v_add_co_u32 v192, vcc_lo, s8, v125
	s_delay_alu instid0(VALU_DEP_1)
	v_add_co_ci_u32_e64 v193, null, s9, v126, vcc_lo
	.loc	1 31 20                         ; matmul.py:31:20
	global_load_u16 v192, v[192:193], off
.LBB0_194:                              ;   in Loop: Header=BB0_132 Depth=1
	.loc	1 0 20 is_stmt 0                ; matmul.py:0:20
	s_or_b32 exec_lo, exec_lo, s2
	s_delay_alu instid0(SALU_CYCLE_1)
	.loc	1 31 20                         ; matmul.py:31:20
	s_mov_b32 s2, exec_lo
	.loc	1 31 51                         ; matmul.py:31:51
	v_cmpx_gt_i32_e64 s11, v182
	.loc	1 31 20                         ; matmul.py:31:20
	s_cbranch_execz .LBB0_131
; %bb.195:                              ;   in Loop: Header=BB0_132 Depth=1
	.loc	1 29 22 is_stmt 1               ; matmul.py:29:22
	v_add_co_u32 v193, vcc_lo, s8, v127
	s_delay_alu instid0(VALU_DEP_1)
	v_add_co_ci_u32_e64 v194, null, s9, v128, vcc_lo
	.loc	1 31 20                         ; matmul.py:31:20
	global_load_u16 v160, v[193:194], off
	s_branch .LBB0_131
.LBB0_196:                              ; %Flow285
	.loc	1 0 20 is_stmt 0                ; matmul.py:0:20
	s_load_b64 s[18:19], s[0:1], 0x34
	.loc	1 32 35 is_stmt 1               ; matmul.py:32:35
	s_and_not1_b32 vcc_lo, exec_lo, s12
	.loc	1 30 20                         ; matmul.py:30:20
	s_waitcnt lgkmcnt(0)
	s_barrier
	buffer_gl0_inv
	.loc	1 32 35                         ; matmul.py:32:35
	s_cbranch_vccnz .LBB0_198
; %bb.197:
	.loc	1 31 20                         ; matmul.py:31:20
	v_add_nc_u32_e32 v33, 0, v166
	.loc	1 30 20                         ; matmul.py:30:20
	v_lshlrev_b32_e32 v65, 3, v0
	v_lshlrev_b32_e32 v66, 4, v164
	;; [unrolled: 1-line block ×3, first 2 shown]
	s_delay_alu instid0(VALU_DEP_4) | instskip(NEXT) | instid1(VALU_DEP_4)
	.loc	1 31 20                         ; matmul.py:31:20
	v_lshl_add_u32 v81, v165, 1, v33
	.loc	1 30 20                         ; matmul.py:30:20
	v_and_b32_e32 v65, 48, v65
	.loc	1 31 20                         ; matmul.py:31:20
	ds_load_u16 v37, v81 offset:5120
	ds_load_u16 v44, v81 offset:4928
	;; [unrolled: 1-line block ×3, first 2 shown]
	.loc	1 30 20                         ; matmul.py:30:20
	v_or3_b32 v65, v67, v65, v66
	.loc	1 31 20                         ; matmul.py:31:20
	ds_load_u16 v56, v81 offset:8000
	ds_load_u16 v55, v81 offset:7744
	;; [unrolled: 1-line block ×16, first 2 shown]
	s_waitcnt lgkmcnt(18)
	ds_load_u16_d16_hi v37, v81 offset:5248
	ds_load_u16 v36, v81 offset:4864
	ds_load_u16 v48, v81 offset:5952
	ds_load_u16 v47, v81 offset:5696
	ds_load_u16 v57, v81 offset:6144
	ds_load_u16 v41, v81 offset:4160
	ds_load_u16 v34, v81 offset:4352
	.loc	1 30 20                         ; matmul.py:30:20
	v_xad_u32 v66, v65, 16, 0
	v_add_nc_u32_e32 v73, 0, v65
	v_xad_u32 v89, v65, 48, 0
	v_xad_u32 v90, v65, 32, 0
	.loc	1 31 20                         ; matmul.py:31:20
	s_waitcnt lgkmcnt(19)
	ds_load_u16_d16_hi v60, v81 offset:7040
	s_waitcnt lgkmcnt(19)
	ds_load_u16_d16_hi v51, v81 offset:6848
	ds_load_u16_d16_hi v56, v81 offset:8128
	ds_load_u16 v64, v81 offset:7936
	ds_load_u16 v63, v81 offset:7680
	s_waitcnt lgkmcnt(19)
	ds_load_u16_d16_hi v61, v81 offset:7296
	ds_load_u16_d16_hi v52, v81 offset:7104
	ds_load_u16_d16_hi v44, v81 offset:5056
	ds_load_u16_d16_hi v38, v81 offset:5504
	ds_load_u16 v35, v81 offset:4608
	ds_load_u16 v33, v81 offset:4096
	s_waitcnt lgkmcnt(20)
	ds_load_u16_d16_hi v62, v81 offset:7552
	ds_load_u16_d16_hi v53, v81 offset:7360
	ds_load_u16 v40, v81 offset:5888
	s_waitcnt lgkmcnt(19)
	ds_load_u16_d16_hi v36, v81 offset:4992
	ds_load_u16 v59, v81 offset:6656
	ds_load_u16 v58, v81 offset:6400
	ds_load_u16_d16_hi v39, v81 offset:5760
	ds_load_u16_d16_hi v46, v81 offset:5568
	;; [unrolled: 1-line block ×3, first 2 shown]
	s_waitcnt lgkmcnt(20)
	ds_load_u16_d16_hi v34, v81 offset:4480
	ds_load_u16_d16_hi v41, v81 offset:4288
	;; [unrolled: 1-line block ×4, first 2 shown]
	s_waitcnt lgkmcnt(20)
	ds_load_u16_d16_hi v64, v81 offset:8064
	s_waitcnt lgkmcnt(20)
	ds_load_u16_d16_hi v63, v81 offset:7808
	ds_load_u16_d16_hi v57, v81 offset:6272
	;; [unrolled: 1-line block ×4, first 2 shown]
	s_waitcnt lgkmcnt(15)
	ds_load_u16_d16_hi v40, v81 offset:6016
	ds_load_u16_d16_hi v43, v81 offset:4800
	;; [unrolled: 1-line block ×5, first 2 shown]
	.loc	1 30 20                         ; matmul.py:30:20
	ds_load_b128 v[69:72], v66 offset:2048
	ds_load_b128 v[77:80], v66
	ds_load_b128 v[65:68], v73 offset:2048
	ds_load_b128 v[73:76], v73
	.loc	1 31 20                         ; matmul.py:31:20
	ds_load_u16_d16_hi v50, v81 offset:6592
	ds_load_u16_d16_hi v49, v81 offset:6336
	s_waitcnt lgkmcnt(24)
	ds_load_u16_d16_hi v59, v81 offset:6784
	s_waitcnt lgkmcnt(24)
	ds_load_u16_d16_hi v58, v81 offset:6528
	.loc	1 30 20                         ; matmul.py:30:20
	ds_load_b128 v[81:84], v90
	ds_load_b128 v[85:88], v89
	ds_load_b128 v[93:96], v89 offset:2048
	ds_load_b128 v[89:92], v90 offset:2048
	.loc	1 32 35                         ; matmul.py:32:35
	s_waitcnt lgkmcnt(8)
	v_wmma_f32_16x16x16_f16 v[17:24], v[41:48], v[73:80], v[17:24]
	v_wmma_f32_16x16x16_f16 v[1:8], v[41:48], v[65:72], v[1:8]
	;; [unrolled: 1-line block ×4, first 2 shown]
	s_waitcnt lgkmcnt(2)
	v_wmma_f32_16x16x16_f16 v[17:24], v[49:56], v[81:88], v[17:24]
	s_waitcnt lgkmcnt(0)
	v_wmma_f32_16x16x16_f16 v[1:8], v[49:56], v[89:96], v[1:8]
	v_wmma_f32_16x16x16_f16 v[25:32], v[57:64], v[81:88], v[25:32]
	;; [unrolled: 1-line block ×3, first 2 shown]
.LBB0_198:                              ; %._crit_edge._crit_edge
	.loc	1 22 51                         ; matmul.py:22:51
	v_lshrrev_b32_e32 v33, 2, v164
	v_bfe_u32 v34, v0, 4, 1
	v_lshrrev_b32_e32 v35, 1, v166
	s_delay_alu instid0(VALU_DEP_3) | instskip(NEXT) | instid1(VALU_DEP_2)
	.loc	1 22 38 is_stmt 0               ; matmul.py:22:38
	v_or3_b32 v0, v33, v165, v161
	.loc	1 23 38 is_stmt 1               ; matmul.py:23:38
	v_or3_b32 v49, v34, v35, v162
	s_delay_alu instid0(VALU_DEP_2) | instskip(SKIP_1) | instid1(VALU_DEP_3)
	.loc	1 39 33                         ; matmul.py:39:33
	v_mul_lo_u32 v33, v0, s18
	.loc	1 40 33                         ; matmul.py:40:33
	v_cmp_gt_i32_e64 s2, s16, v0
	.loc	1 39 64                         ; matmul.py:39:64
	v_mul_lo_u32 v35, v49, s19
	.loc	1 40 58                         ; matmul.py:40:58
	v_cmp_gt_i32_e32 vcc_lo, s17, v49
	s_delay_alu instid0(VALU_DEP_4) | instskip(NEXT) | instid1(VALU_DEP_3)
	.loc	1 39 21                         ; matmul.py:39:21
	v_ashrrev_i32_e32 v34, 31, v33
	.loc	1 39 52 is_stmt 0               ; matmul.py:39:52
	v_ashrrev_i32_e32 v36, 31, v35
	s_delay_alu instid0(VALU_DEP_2) | instskip(NEXT) | instid1(VALU_DEP_2)
	.loc	1 39 21                         ; matmul.py:39:21
	v_lshlrev_b64 v[37:38], 2, v[33:34]
	v_lshlrev_b64 v[33:34], 2, v[35:36]
	s_delay_alu instid0(VALU_DEP_2) | instskip(NEXT) | instid1(VALU_DEP_1)
	v_add_co_u32 v51, s0, s20, v37
	v_add_co_ci_u32_e64 v52, null, s21, v38, s0
	.loc	1 40 39 is_stmt 1               ; matmul.py:40:39
	s_and_b32 s0, s2, vcc_lo
	s_delay_alu instid0(SALU_CYCLE_1)
	.loc	1 41 21                         ; matmul.py:41:21
	s_and_saveexec_b32 s1, s0
	s_cbranch_execz .LBB0_200
; %bb.199:
	.loc	1 0 21 is_stmt 0                ; matmul.py:0:21
	v_add_co_u32 v35, s0, v51, v33
	s_delay_alu instid0(VALU_DEP_1)
	v_add_co_ci_u32_e64 v36, null, v52, v34, s0
	.loc	1 41 21                         ; matmul.py:41:21
	global_store_b32 v[35:36], v25, off
.LBB0_200:
	.loc	1 0 21                          ; matmul.py:0:21
	s_or_b32 exec_lo, exec_lo, s1
	.loc	1 23 38 is_stmt 1               ; matmul.py:23:38
	v_or_b32_e32 v25, 2, v49
	s_delay_alu instid0(VALU_DEP_1) | instskip(SKIP_3) | instid1(VALU_DEP_1)
	.loc	1 39 64                         ; matmul.py:39:64
	v_mul_lo_u32 v35, s19, v25
	.loc	1 40 58                         ; matmul.py:40:58
	v_cmp_gt_i32_e64 s0, s17, v25
	.loc	1 40 39 is_stmt 0               ; matmul.py:40:39
	s_and_b32 s1, s0, s2
	.loc	1 39 52 is_stmt 1               ; matmul.py:39:52
	v_ashrrev_i32_e32 v36, 31, v35
	v_lshlrev_b64 v[35:36], 2, v[35:36]
	.loc	1 41 21                         ; matmul.py:41:21
	s_and_saveexec_b32 s3, s1
	s_cbranch_execz .LBB0_202
; %bb.201:
	.loc	1 0 21 is_stmt 0                ; matmul.py:0:21
	s_delay_alu instid0(VALU_DEP_1) | instskip(NEXT) | instid1(VALU_DEP_1)
	.loc	1 39 52 is_stmt 1               ; matmul.py:39:52
	v_add_co_u32 v37, s1, v51, v35
	v_add_co_ci_u32_e64 v38, null, v52, v36, s1
	.loc	1 41 21                         ; matmul.py:41:21
	global_store_b32 v[37:38], v26, off
.LBB0_202:
	.loc	1 0 21 is_stmt 0                ; matmul.py:0:21
	s_or_b32 exec_lo, exec_lo, s3
	.loc	1 23 38 is_stmt 1               ; matmul.py:23:38
	v_or_b32_e32 v37, 4, v49
	s_delay_alu instid0(VALU_DEP_1) | instskip(SKIP_3) | instid1(VALU_DEP_1)
	.loc	1 39 64                         ; matmul.py:39:64
	v_mul_lo_u32 v25, s19, v37
	.loc	1 40 58                         ; matmul.py:40:58
	v_cmp_gt_i32_e64 s1, s17, v37
	.loc	1 40 39 is_stmt 0               ; matmul.py:40:39
	s_and_b32 s3, s1, s2
	.loc	1 39 52 is_stmt 1               ; matmul.py:39:52
	v_ashrrev_i32_e32 v26, 31, v25
	v_lshlrev_b64 v[25:26], 2, v[25:26]
	.loc	1 41 21                         ; matmul.py:41:21
	s_and_saveexec_b32 s4, s3
	s_cbranch_execz .LBB0_204
; %bb.203:
	.loc	1 0 21 is_stmt 0                ; matmul.py:0:21
	s_delay_alu instid0(VALU_DEP_1) | instskip(NEXT) | instid1(VALU_DEP_1)
	.loc	1 39 52 is_stmt 1               ; matmul.py:39:52
	v_add_co_u32 v37, s3, v51, v25
	v_add_co_ci_u32_e64 v38, null, v52, v26, s3
	.loc	1 41 21                         ; matmul.py:41:21
	global_store_b32 v[37:38], v27, off
.LBB0_204:
	.loc	1 0 21 is_stmt 0                ; matmul.py:0:21
	;; [unrolled: 26-line block ×15, first 2 shown]
	s_or_b32 exec_lo, exec_lo, s17
	.loc	1 22 38 is_stmt 1               ; matmul.py:22:38
	v_or_b32_e32 v0, 32, v0
	s_delay_alu instid0(VALU_DEP_1) | instskip(SKIP_3) | instid1(VALU_DEP_1)
	.loc	1 39 33                         ; matmul.py:39:33
	v_mul_lo_u32 v23, s18, v0
	.loc	1 40 33                         ; matmul.py:40:33
	v_cmp_gt_i32_e64 s2, s16, v0
	.loc	1 40 39 is_stmt 0               ; matmul.py:40:39
	s_and_b32 s17, s2, vcc_lo
	.loc	1 39 21 is_stmt 1               ; matmul.py:39:21
	v_ashrrev_i32_e32 v24, 31, v23
	v_lshlrev_b64 v[23:24], 2, v[23:24]
	s_delay_alu instid0(VALU_DEP_1) | instskip(NEXT) | instid1(VALU_DEP_1)
	v_add_co_u32 v0, s16, s20, v23
	v_add_co_ci_u32_e64 v23, null, s21, v24, s16
	.loc	1 41 21                         ; matmul.py:41:21
	s_and_saveexec_b32 s16, s17
	s_cbranch_execnz .LBB0_247
; %bb.231:
	.loc	1 0 21 is_stmt 0                ; matmul.py:0:21
	s_or_b32 exec_lo, exec_lo, s16
	.loc	1 40 39 is_stmt 1               ; matmul.py:40:39
	s_and_b32 s16, s2, s0
	s_delay_alu instid0(SALU_CYCLE_1)
	.loc	1 41 21                         ; matmul.py:41:21
	s_and_saveexec_b32 s0, s16
	s_cbranch_execnz .LBB0_248
.LBB0_232:
	.loc	1 0 21 is_stmt 0                ; matmul.py:0:21
	s_or_b32 exec_lo, exec_lo, s0
	.loc	1 40 39 is_stmt 1               ; matmul.py:40:39
	s_and_b32 s1, s2, s1
	s_delay_alu instid0(SALU_CYCLE_1)
	.loc	1 41 21                         ; matmul.py:41:21
	s_and_saveexec_b32 s0, s1
	s_cbranch_execnz .LBB0_249
.LBB0_233:
	.loc	1 0 21 is_stmt 0                ; matmul.py:0:21
	s_or_b32 exec_lo, exec_lo, s0
	.loc	1 40 39 is_stmt 1               ; matmul.py:40:39
	s_and_b32 s1, s2, s3
	s_delay_alu instid0(SALU_CYCLE_1)
	.loc	1 41 21                         ; matmul.py:41:21
	s_and_saveexec_b32 s0, s1
	s_cbranch_execnz .LBB0_250
.LBB0_234:
	.loc	1 0 21 is_stmt 0                ; matmul.py:0:21
	s_or_b32 exec_lo, exec_lo, s0
	.loc	1 40 39 is_stmt 1               ; matmul.py:40:39
	s_and_b32 s1, s2, s4
	s_delay_alu instid0(SALU_CYCLE_1)
	.loc	1 41 21                         ; matmul.py:41:21
	s_and_saveexec_b32 s0, s1
	s_cbranch_execnz .LBB0_251
.LBB0_235:
	.loc	1 0 21 is_stmt 0                ; matmul.py:0:21
	s_or_b32 exec_lo, exec_lo, s0
	.loc	1 40 39 is_stmt 1               ; matmul.py:40:39
	s_and_b32 s1, s2, s5
	s_delay_alu instid0(SALU_CYCLE_1)
	.loc	1 41 21                         ; matmul.py:41:21
	s_and_saveexec_b32 s0, s1
	s_cbranch_execnz .LBB0_252
.LBB0_236:
	.loc	1 0 21 is_stmt 0                ; matmul.py:0:21
	s_or_b32 exec_lo, exec_lo, s0
	.loc	1 40 39 is_stmt 1               ; matmul.py:40:39
	s_and_b32 s1, s2, s6
	s_delay_alu instid0(SALU_CYCLE_1)
	.loc	1 41 21                         ; matmul.py:41:21
	s_and_saveexec_b32 s0, s1
	s_cbranch_execnz .LBB0_253
.LBB0_237:
	.loc	1 0 21 is_stmt 0                ; matmul.py:0:21
	s_or_b32 exec_lo, exec_lo, s0
	.loc	1 40 39 is_stmt 1               ; matmul.py:40:39
	s_and_b32 s1, s2, s7
	s_delay_alu instid0(SALU_CYCLE_1)
	.loc	1 41 21                         ; matmul.py:41:21
	s_and_saveexec_b32 s0, s1
	s_cbranch_execnz .LBB0_254
.LBB0_238:
	.loc	1 0 21 is_stmt 0                ; matmul.py:0:21
	s_or_b32 exec_lo, exec_lo, s0
	.loc	1 40 39 is_stmt 1               ; matmul.py:40:39
	s_and_b32 s1, s2, s8
	s_delay_alu instid0(SALU_CYCLE_1)
	.loc	1 41 21                         ; matmul.py:41:21
	s_and_saveexec_b32 s0, s1
	s_cbranch_execnz .LBB0_255
.LBB0_239:
	.loc	1 0 21 is_stmt 0                ; matmul.py:0:21
	s_or_b32 exec_lo, exec_lo, s0
	.loc	1 40 39 is_stmt 1               ; matmul.py:40:39
	s_and_b32 s1, s2, s9
	s_delay_alu instid0(SALU_CYCLE_1)
	.loc	1 41 21                         ; matmul.py:41:21
	s_and_saveexec_b32 s0, s1
	s_cbranch_execnz .LBB0_256
.LBB0_240:
	.loc	1 0 21 is_stmt 0                ; matmul.py:0:21
	s_or_b32 exec_lo, exec_lo, s0
	.loc	1 40 39 is_stmt 1               ; matmul.py:40:39
	s_and_b32 s1, s2, s10
	s_delay_alu instid0(SALU_CYCLE_1)
	.loc	1 41 21                         ; matmul.py:41:21
	s_and_saveexec_b32 s0, s1
	s_cbranch_execnz .LBB0_257
.LBB0_241:
	.loc	1 0 21 is_stmt 0                ; matmul.py:0:21
	s_or_b32 exec_lo, exec_lo, s0
	.loc	1 40 39 is_stmt 1               ; matmul.py:40:39
	s_and_b32 s1, s2, s11
	s_delay_alu instid0(SALU_CYCLE_1)
	.loc	1 41 21                         ; matmul.py:41:21
	s_and_saveexec_b32 s0, s1
	s_cbranch_execnz .LBB0_258
.LBB0_242:
	.loc	1 0 21 is_stmt 0                ; matmul.py:0:21
	s_or_b32 exec_lo, exec_lo, s0
	.loc	1 40 39 is_stmt 1               ; matmul.py:40:39
	s_and_b32 s1, s2, s12
	s_delay_alu instid0(SALU_CYCLE_1)
	.loc	1 41 21                         ; matmul.py:41:21
	s_and_saveexec_b32 s0, s1
	s_cbranch_execnz .LBB0_259
.LBB0_243:
	.loc	1 0 21 is_stmt 0                ; matmul.py:0:21
	s_or_b32 exec_lo, exec_lo, s0
	.loc	1 40 39 is_stmt 1               ; matmul.py:40:39
	s_and_b32 s1, s2, s13
	s_delay_alu instid0(SALU_CYCLE_1)
	.loc	1 41 21                         ; matmul.py:41:21
	s_and_saveexec_b32 s0, s1
	s_cbranch_execnz .LBB0_260
.LBB0_244:
	.loc	1 0 21 is_stmt 0                ; matmul.py:0:21
	s_or_b32 exec_lo, exec_lo, s0
	.loc	1 40 39 is_stmt 1               ; matmul.py:40:39
	s_and_b32 s1, s2, s14
	s_delay_alu instid0(SALU_CYCLE_1)
	.loc	1 41 21                         ; matmul.py:41:21
	s_and_saveexec_b32 s0, s1
	s_cbranch_execnz .LBB0_261
.LBB0_245:
	.loc	1 0 21 is_stmt 0                ; matmul.py:0:21
	s_or_b32 exec_lo, exec_lo, s0
	.loc	1 40 39 is_stmt 1               ; matmul.py:40:39
	s_and_b32 s0, s2, s15
	s_delay_alu instid0(SALU_CYCLE_1)
	.loc	1 41 21                         ; matmul.py:41:21
	s_and_saveexec_b32 s1, s0
	s_cbranch_execnz .LBB0_262
.LBB0_246:
	.loc	1 41 4 is_stmt 0                ; matmul.py:41:4
	s_nop 0
	s_sendmsg sendmsg(MSG_DEALLOC_VGPRS)
	s_endpgm
.LBB0_247:
	.loc	1 39 52 is_stmt 1               ; matmul.py:39:52
	v_add_co_u32 v33, vcc_lo, v0, v33
	s_delay_alu instid0(VALU_DEP_1) | instskip(SKIP_3) | instid1(SALU_CYCLE_1)
	v_add_co_ci_u32_e64 v34, null, v23, v34, vcc_lo
	.loc	1 41 21                         ; matmul.py:41:21
	global_store_b32 v[33:34], v9, off
	s_or_b32 exec_lo, exec_lo, s16
	.loc	1 40 39                         ; matmul.py:40:39
	s_and_b32 s16, s2, s0
	.loc	1 41 21                         ; matmul.py:41:21
	s_and_saveexec_b32 s0, s16
	s_cbranch_execz .LBB0_232
.LBB0_248:
	.loc	1 39 52                         ; matmul.py:39:52
	v_add_co_u32 v33, vcc_lo, v0, v35
	s_delay_alu instid0(VALU_DEP_1) | instskip(SKIP_3) | instid1(SALU_CYCLE_1)
	v_add_co_ci_u32_e64 v34, null, v23, v36, vcc_lo
	.loc	1 41 21                         ; matmul.py:41:21
	global_store_b32 v[33:34], v10, off
	s_or_b32 exec_lo, exec_lo, s0
	.loc	1 40 39                         ; matmul.py:40:39
	s_and_b32 s1, s2, s1
	.loc	1 41 21                         ; matmul.py:41:21
	s_and_saveexec_b32 s0, s1
	s_cbranch_execz .LBB0_233
.LBB0_249:
	.loc	1 39 52                         ; matmul.py:39:52
	v_add_co_u32 v9, vcc_lo, v0, v25
	s_delay_alu instid0(VALU_DEP_1) | instskip(SKIP_3) | instid1(SALU_CYCLE_1)
	v_add_co_ci_u32_e64 v10, null, v23, v26, vcc_lo
	.loc	1 41 21                         ; matmul.py:41:21
	global_store_b32 v[9:10], v11, off
	s_or_b32 exec_lo, exec_lo, s0
	.loc	1 40 39                         ; matmul.py:40:39
	s_and_b32 s1, s2, s3
	.loc	1 41 21                         ; matmul.py:41:21
	s_and_saveexec_b32 s0, s1
	s_cbranch_execz .LBB0_234
.LBB0_250:
	.loc	1 39 52                         ; matmul.py:39:52
	v_add_co_u32 v9, vcc_lo, v0, v37
	s_delay_alu instid0(VALU_DEP_1) | instskip(SKIP_3) | instid1(SALU_CYCLE_1)
	v_add_co_ci_u32_e64 v10, null, v23, v38, vcc_lo
	.loc	1 41 21                         ; matmul.py:41:21
	global_store_b32 v[9:10], v12, off
	s_or_b32 exec_lo, exec_lo, s0
	.loc	1 40 39                         ; matmul.py:40:39
	s_and_b32 s1, s2, s4
	.loc	1 41 21                         ; matmul.py:41:21
	s_and_saveexec_b32 s0, s1
	s_cbranch_execz .LBB0_235
.LBB0_251:
	.loc	1 39 52                         ; matmul.py:39:52
	v_add_co_u32 v9, vcc_lo, v0, v27
	s_delay_alu instid0(VALU_DEP_1) | instskip(SKIP_3) | instid1(SALU_CYCLE_1)
	v_add_co_ci_u32_e64 v10, null, v23, v28, vcc_lo
	.loc	1 41 21                         ; matmul.py:41:21
	global_store_b32 v[9:10], v13, off
	s_or_b32 exec_lo, exec_lo, s0
	.loc	1 40 39                         ; matmul.py:40:39
	s_and_b32 s1, s2, s5
	.loc	1 41 21                         ; matmul.py:41:21
	s_and_saveexec_b32 s0, s1
	s_cbranch_execz .LBB0_236
.LBB0_252:
	.loc	1 39 52                         ; matmul.py:39:52
	v_add_co_u32 v9, vcc_lo, v0, v39
	s_delay_alu instid0(VALU_DEP_1) | instskip(SKIP_3) | instid1(SALU_CYCLE_1)
	v_add_co_ci_u32_e64 v10, null, v23, v40, vcc_lo
	.loc	1 41 21                         ; matmul.py:41:21
	global_store_b32 v[9:10], v14, off
	s_or_b32 exec_lo, exec_lo, s0
	.loc	1 40 39                         ; matmul.py:40:39
	s_and_b32 s1, s2, s6
	.loc	1 41 21                         ; matmul.py:41:21
	s_and_saveexec_b32 s0, s1
	s_cbranch_execz .LBB0_237
.LBB0_253:
	.loc	1 39 52                         ; matmul.py:39:52
	v_add_co_u32 v9, vcc_lo, v0, v29
	s_delay_alu instid0(VALU_DEP_1) | instskip(SKIP_3) | instid1(SALU_CYCLE_1)
	v_add_co_ci_u32_e64 v10, null, v23, v30, vcc_lo
	.loc	1 41 21                         ; matmul.py:41:21
	global_store_b32 v[9:10], v15, off
	s_or_b32 exec_lo, exec_lo, s0
	.loc	1 40 39                         ; matmul.py:40:39
	s_and_b32 s1, s2, s7
	.loc	1 41 21                         ; matmul.py:41:21
	s_and_saveexec_b32 s0, s1
	s_cbranch_execz .LBB0_238
.LBB0_254:
	.loc	1 39 52                         ; matmul.py:39:52
	v_add_co_u32 v9, vcc_lo, v0, v41
	s_delay_alu instid0(VALU_DEP_1) | instskip(SKIP_3) | instid1(SALU_CYCLE_1)
	v_add_co_ci_u32_e64 v10, null, v23, v42, vcc_lo
	.loc	1 41 21                         ; matmul.py:41:21
	global_store_b32 v[9:10], v16, off
	s_or_b32 exec_lo, exec_lo, s0
	.loc	1 40 39                         ; matmul.py:40:39
	s_and_b32 s1, s2, s8
	.loc	1 41 21                         ; matmul.py:41:21
	s_and_saveexec_b32 s0, s1
	s_cbranch_execz .LBB0_239
.LBB0_255:
	.loc	1 39 52                         ; matmul.py:39:52
	v_add_co_u32 v9, vcc_lo, v0, v31
	s_delay_alu instid0(VALU_DEP_1) | instskip(SKIP_3) | instid1(SALU_CYCLE_1)
	v_add_co_ci_u32_e64 v10, null, v23, v32, vcc_lo
	.loc	1 41 21                         ; matmul.py:41:21
	global_store_b32 v[9:10], v1, off
	s_or_b32 exec_lo, exec_lo, s0
	.loc	1 40 39                         ; matmul.py:40:39
	s_and_b32 s1, s2, s9
	.loc	1 41 21                         ; matmul.py:41:21
	s_and_saveexec_b32 s0, s1
	s_cbranch_execz .LBB0_240
.LBB0_256:
	.loc	1 39 52                         ; matmul.py:39:52
	v_add_co_u32 v9, vcc_lo, v0, v43
	s_delay_alu instid0(VALU_DEP_1) | instskip(SKIP_3) | instid1(SALU_CYCLE_1)
	v_add_co_ci_u32_e64 v10, null, v23, v44, vcc_lo
	.loc	1 41 21                         ; matmul.py:41:21
	global_store_b32 v[9:10], v2, off
	s_or_b32 exec_lo, exec_lo, s0
	.loc	1 40 39                         ; matmul.py:40:39
	s_and_b32 s1, s2, s10
	.loc	1 41 21                         ; matmul.py:41:21
	s_and_saveexec_b32 s0, s1
	s_cbranch_execz .LBB0_241
.LBB0_257:
	.loc	1 39 52                         ; matmul.py:39:52
	v_add_co_u32 v1, vcc_lo, v0, v17
	s_delay_alu instid0(VALU_DEP_1) | instskip(SKIP_3) | instid1(SALU_CYCLE_1)
	v_add_co_ci_u32_e64 v2, null, v23, v18, vcc_lo
	.loc	1 41 21                         ; matmul.py:41:21
	global_store_b32 v[1:2], v3, off
	s_or_b32 exec_lo, exec_lo, s0
	.loc	1 40 39                         ; matmul.py:40:39
	s_and_b32 s1, s2, s11
	.loc	1 41 21                         ; matmul.py:41:21
	s_and_saveexec_b32 s0, s1
	s_cbranch_execz .LBB0_242
.LBB0_258:
	.loc	1 39 52                         ; matmul.py:39:52
	v_add_co_u32 v1, vcc_lo, v0, v45
	s_delay_alu instid0(VALU_DEP_1) | instskip(SKIP_3) | instid1(SALU_CYCLE_1)
	v_add_co_ci_u32_e64 v2, null, v23, v46, vcc_lo
	.loc	1 41 21                         ; matmul.py:41:21
	global_store_b32 v[1:2], v4, off
	s_or_b32 exec_lo, exec_lo, s0
	.loc	1 40 39                         ; matmul.py:40:39
	s_and_b32 s1, s2, s12
	.loc	1 41 21                         ; matmul.py:41:21
	s_and_saveexec_b32 s0, s1
	s_cbranch_execz .LBB0_243
.LBB0_259:
	.loc	1 39 52                         ; matmul.py:39:52
	v_add_co_u32 v1, vcc_lo, v0, v19
	s_delay_alu instid0(VALU_DEP_1) | instskip(SKIP_3) | instid1(SALU_CYCLE_1)
	v_add_co_ci_u32_e64 v2, null, v23, v20, vcc_lo
	.loc	1 41 21                         ; matmul.py:41:21
	global_store_b32 v[1:2], v5, off
	s_or_b32 exec_lo, exec_lo, s0
	.loc	1 40 39                         ; matmul.py:40:39
	s_and_b32 s1, s2, s13
	.loc	1 41 21                         ; matmul.py:41:21
	s_and_saveexec_b32 s0, s1
	s_cbranch_execz .LBB0_244
.LBB0_260:
	.loc	1 39 52                         ; matmul.py:39:52
	v_add_co_u32 v1, vcc_lo, v0, v47
	s_delay_alu instid0(VALU_DEP_1) | instskip(SKIP_3) | instid1(SALU_CYCLE_1)
	v_add_co_ci_u32_e64 v2, null, v23, v48, vcc_lo
	.loc	1 41 21                         ; matmul.py:41:21
	global_store_b32 v[1:2], v6, off
	s_or_b32 exec_lo, exec_lo, s0
	.loc	1 40 39                         ; matmul.py:40:39
	s_and_b32 s1, s2, s14
	.loc	1 41 21                         ; matmul.py:41:21
	s_and_saveexec_b32 s0, s1
	s_cbranch_execz .LBB0_245
.LBB0_261:
	.loc	1 39 52                         ; matmul.py:39:52
	v_add_co_u32 v1, vcc_lo, v0, v21
	s_delay_alu instid0(VALU_DEP_1) | instskip(SKIP_3) | instid1(SALU_CYCLE_1)
	v_add_co_ci_u32_e64 v2, null, v23, v22, vcc_lo
	.loc	1 41 21                         ; matmul.py:41:21
	global_store_b32 v[1:2], v7, off
	s_or_b32 exec_lo, exec_lo, s0
	.loc	1 40 39                         ; matmul.py:40:39
	s_and_b32 s0, s2, s15
	.loc	1 41 21                         ; matmul.py:41:21
	s_and_saveexec_b32 s1, s0
	s_cbranch_execz .LBB0_246
.LBB0_262:
	.loc	1 39 52                         ; matmul.py:39:52
	v_add_co_u32 v0, vcc_lo, v0, v49
	s_delay_alu instid0(VALU_DEP_1)
	v_add_co_ci_u32_e64 v1, null, v23, v50, vcc_lo
	.loc	1 41 21                         ; matmul.py:41:21
	global_store_b32 v[0:1], v8, off
	.loc	1 41 4 is_stmt 0                ; matmul.py:41:4
	s_nop 0
	s_sendmsg sendmsg(MSG_DEALLOC_VGPRS)
	s_endpgm
.Ltmp20:
	.section	.rodata,"a",@progbits
	.p2align	6, 0x0
	.amdhsa_kernel matmul_kernel
		.amdhsa_group_segment_fixed_size 0
		.amdhsa_private_segment_fixed_size 0
		.amdhsa_kernarg_size 80
		.amdhsa_user_sgpr_count 15
		.amdhsa_user_sgpr_dispatch_ptr 0
		.amdhsa_user_sgpr_queue_ptr 0
		.amdhsa_user_sgpr_kernarg_segment_ptr 1
		.amdhsa_user_sgpr_dispatch_id 0
		.amdhsa_user_sgpr_private_segment_size 0
		.amdhsa_wavefront_size32 1
		.amdhsa_uses_dynamic_stack 0
		.amdhsa_enable_private_segment 0
		.amdhsa_system_sgpr_workgroup_id_x 1
		.amdhsa_system_sgpr_workgroup_id_y 0
		.amdhsa_system_sgpr_workgroup_id_z 0
		.amdhsa_system_sgpr_workgroup_info 0
		.amdhsa_system_vgpr_workitem_id 0
		.amdhsa_next_free_vgpr 225
		.amdhsa_next_free_sgpr 32
		.amdhsa_reserve_vcc 1
		.amdhsa_float_round_mode_32 0
		.amdhsa_float_round_mode_16_64 0
		.amdhsa_float_denorm_mode_32 3
		.amdhsa_float_denorm_mode_16_64 3
		.amdhsa_dx10_clamp 1
		.amdhsa_ieee_mode 1
		.amdhsa_fp16_overflow 0
		.amdhsa_workgroup_processor_mode 1
		.amdhsa_memory_ordered 1
		.amdhsa_forward_progress 1
		.amdhsa_shared_vgpr_count 0
		.amdhsa_inst_pref_size 63
		.amdhsa_exception_fp_ieee_invalid_op 0
		.amdhsa_exception_fp_denorm_src 0
		.amdhsa_exception_fp_ieee_div_zero 0
		.amdhsa_exception_fp_ieee_overflow 0
		.amdhsa_exception_fp_ieee_underflow 0
		.amdhsa_exception_fp_ieee_inexact 0
		.amdhsa_exception_int_div_zero 0
	.end_amdhsa_kernel
	.text
.Lfunc_end0:
	.size	matmul_kernel, .Lfunc_end0-matmul_kernel
	.cfi_endproc
                                        ; -- End function
	.set matmul_kernel.num_vgpr, 225
	.set matmul_kernel.num_agpr, 0
	.set matmul_kernel.numbered_sgpr, 32
	.set matmul_kernel.num_named_barrier, 0
	.set matmul_kernel.private_seg_size, 0
	.set matmul_kernel.uses_vcc, 1
	.set matmul_kernel.uses_flat_scratch, 0
	.set matmul_kernel.has_dyn_sized_stack, 0
	.set matmul_kernel.has_recursion, 0
	.set matmul_kernel.has_indirect_call, 0
	.section	.AMDGPU.csdata,"",@progbits
; Kernel info:
; codeLenInByte = 13676
; TotalNumSgprs: 34
; NumVgprs: 225
; ScratchSize: 0
; MemoryBound: 0
; FloatMode: 240
; IeeeMode: 1
; LDSByteSize: 0 bytes/workgroup (compile time only)
; SGPRBlocks: 0
; VGPRBlocks: 28
; NumSGPRsForWavesPerEU: 34
; NumVGPRsForWavesPerEU: 225
; Occupancy: 6
; WaveLimiterHint : 0
; COMPUTE_PGM_RSRC2:SCRATCH_EN: 0
; COMPUTE_PGM_RSRC2:USER_SGPR: 15
; COMPUTE_PGM_RSRC2:TRAP_HANDLER: 0
; COMPUTE_PGM_RSRC2:TGID_X_EN: 1
; COMPUTE_PGM_RSRC2:TGID_Y_EN: 0
; COMPUTE_PGM_RSRC2:TGID_Z_EN: 0
; COMPUTE_PGM_RSRC2:TIDIG_COMP_CNT: 0
	.text
	.p2alignl 7, 3214868480
	.fill 96, 4, 3214868480
	.section	.AMDGPU.gpr_maximums,"",@progbits
	.set amdgpu.max_num_vgpr, 0
	.set amdgpu.max_num_agpr, 0
	.set amdgpu.max_num_sgpr, 0
	.set amdgpu.max_num_named_barrier, 0
	.text
	.section	.debug_abbrev,"",@progbits
	.byte	1                               ; Abbreviation Code
	.byte	17                              ; DW_TAG_compile_unit
	.byte	1                               ; DW_CHILDREN_yes
	.byte	37                              ; DW_AT_producer
	.byte	14                              ; DW_FORM_strp
	.byte	19                              ; DW_AT_language
	.byte	5                               ; DW_FORM_data2
	.byte	3                               ; DW_AT_name
	.byte	14                              ; DW_FORM_strp
	.byte	16                              ; DW_AT_stmt_list
	.byte	23                              ; DW_FORM_sec_offset
	.byte	27                              ; DW_AT_comp_dir
	.byte	14                              ; DW_FORM_strp
	.byte	17                              ; DW_AT_low_pc
	.byte	1                               ; DW_FORM_addr
	.byte	18                              ; DW_AT_high_pc
	.byte	6                               ; DW_FORM_data4
	.byte	0                               ; EOM(1)
	.byte	0                               ; EOM(2)
	.byte	2                               ; Abbreviation Code
	.byte	46                              ; DW_TAG_subprogram
	.byte	0                               ; DW_CHILDREN_no
	.byte	3                               ; DW_AT_name
	.byte	14                              ; DW_FORM_strp
	.byte	32                              ; DW_AT_inline
	.byte	11                              ; DW_FORM_data1
	.byte	0                               ; EOM(1)
	.byte	0                               ; EOM(2)
	.byte	3                               ; Abbreviation Code
	.byte	46                              ; DW_TAG_subprogram
	.byte	1                               ; DW_CHILDREN_yes
	.byte	17                              ; DW_AT_low_pc
	.byte	1                               ; DW_FORM_addr
	.byte	18                              ; DW_AT_high_pc
	.byte	6                               ; DW_FORM_data4
	.byte	49                              ; DW_AT_abstract_origin
	.byte	19                              ; DW_FORM_ref4
	.byte	0                               ; EOM(1)
	.byte	0                               ; EOM(2)
	.byte	4                               ; Abbreviation Code
	.byte	29                              ; DW_TAG_inlined_subroutine
	.byte	0                               ; DW_CHILDREN_no
	.byte	49                              ; DW_AT_abstract_origin
	.byte	19                              ; DW_FORM_ref4
	.byte	85                              ; DW_AT_ranges
	.byte	23                              ; DW_FORM_sec_offset
	.byte	88                              ; DW_AT_call_file
	.byte	11                              ; DW_FORM_data1
	.byte	89                              ; DW_AT_call_line
	.byte	11                              ; DW_FORM_data1
	.byte	87                              ; DW_AT_call_column
	.byte	11                              ; DW_FORM_data1
	.byte	0                               ; EOM(1)
	.byte	0                               ; EOM(2)
	;; [unrolled: 1-line block ×3, first 2 shown]
	.section	.debug_info,"",@progbits
.Lcu_begin0:
	.long	.Ldebug_info_end0-.Ldebug_info_start0 ; Length of Unit
.Ldebug_info_start0:
	.short	4                               ; DWARF version number
	.long	.debug_abbrev                   ; Offset Into Abbrev. Section
	.byte	8                               ; Address Size (in bytes)
	.byte	1                               ; Abbrev [1] 0xb:0x5c DW_TAG_compile_unit
	.long	.Linfo_string0                  ; DW_AT_producer
	.short	2                               ; DW_AT_language
	.long	.Linfo_string1                  ; DW_AT_name
	.long	.Lline_table_start0             ; DW_AT_stmt_list
	.long	.Linfo_string2                  ; DW_AT_comp_dir
	.quad	.Lfunc_begin0                   ; DW_AT_low_pc
	.long	.Lfunc_end0-.Lfunc_begin0       ; DW_AT_high_pc
	.byte	2                               ; Abbrev [2] 0x2a:0x6 DW_TAG_subprogram
	.long	.Linfo_string3                  ; DW_AT_name
	.byte	1                               ; DW_AT_inline
	.byte	3                               ; Abbrev [3] 0x30:0x36 DW_TAG_subprogram
	.quad	.Lfunc_begin0                   ; DW_AT_low_pc
	.long	.Lfunc_end0-.Lfunc_begin0       ; DW_AT_high_pc
	.long	42                              ; DW_AT_abstract_origin
	.byte	4                               ; Abbrev [4] 0x41:0xc DW_TAG_inlined_subroutine
	.long	42                              ; DW_AT_abstract_origin
	.long	.Ldebug_ranges0                 ; DW_AT_ranges
	.byte	1                               ; DW_AT_call_file
	.byte	14                              ; DW_AT_call_line
	.byte	27                              ; DW_AT_call_column
	.byte	4                               ; Abbrev [4] 0x4d:0xc DW_TAG_inlined_subroutine
	.long	42                              ; DW_AT_abstract_origin
	.long	.Ldebug_ranges1                 ; DW_AT_ranges
	.byte	1                               ; DW_AT_call_file
	.byte	13                              ; DW_AT_call_line
	.byte	27                              ; DW_AT_call_column
	;; [unrolled: 6-line block ×3, first 2 shown]
	.byte	0                               ; End Of Children Mark
	.byte	0                               ; End Of Children Mark
.Ldebug_info_end0:
	.section	.debug_ranges,"",@progbits
.Ldebug_ranges0:
	.quad	.Ltmp1-.Lfunc_begin0
	.quad	.Ltmp2-.Lfunc_begin0
	;; [unrolled: 1-line block ×10, first 2 shown]
	.quad	0
	.quad	0
.Ldebug_ranges1:
	.quad	.Ltmp2-.Lfunc_begin0
	.quad	.Ltmp3-.Lfunc_begin0
	;; [unrolled: 1-line block ×10, first 2 shown]
	.quad	0
	.quad	0
.Ldebug_ranges2:
	.quad	.Ltmp12-.Lfunc_begin0
	.quad	.Ltmp13-.Lfunc_begin0
	;; [unrolled: 1-line block ×8, first 2 shown]
	.quad	0
	.quad	0
	.section	.debug_str,"MS",@progbits,1
.Linfo_string0:
	.asciz	"triton"                        ; string offset=0
.Linfo_string1:
	.asciz	"matmul.py"                     ; string offset=7
.Linfo_string2:
	.asciz	"/root/src/amdgpu-assembly/repos/triton-lang__triton-aot" ; string offset=17
.Linfo_string3:
	.asciz	"matmul_kernel"                 ; string offset=73
	.section	".note.GNU-stack","",@progbits
	.amdgpu_metadata
---
amdhsa.kernels:
  - .args:
      - .address_space:  global
        .offset:         0
        .size:           8
        .value_kind:     global_buffer
      - .address_space:  global
        .offset:         8
        .size:           8
        .value_kind:     global_buffer
      - .address_space:  global
        .offset:         16
        .size:           8
        .value_kind:     global_buffer
      - .offset:         24
        .size:           4
        .value_kind:     by_value
      - .offset:         28
        .size:           4
        .value_kind:     by_value
      - .offset:         32
        .size:           4
        .value_kind:     by_value
      - .offset:         36
        .size:           4
        .value_kind:     by_value
      - .offset:         40
        .size:           4
        .value_kind:     by_value
      - .offset:         44
        .size:           4
        .value_kind:     by_value
      - .offset:         48
        .size:           4
        .value_kind:     by_value
      - .offset:         52
        .size:           4
        .value_kind:     by_value
      - .offset:         56
        .size:           4
        .value_kind:     by_value
      - .address_space:  global
        .offset:         64
        .size:           8
        .value_kind:     global_buffer
      - .address_space:  global
        .offset:         72
        .size:           8
        .value_kind:     global_buffer
    .group_segment_fixed_size: 0
    .kernarg_segment_align: 8
    .kernarg_segment_size: 80
    .max_flat_workgroup_size: 128
    .name:           matmul_kernel
    .private_segment_fixed_size: 0
    .sgpr_count:     34
    .sgpr_spill_count: 0
    .symbol:         matmul_kernel.kd
    .uniform_work_group_size: 1
    .uses_dynamic_stack: false
    .vgpr_count:     225
    .vgpr_spill_count: 0
    .wavefront_size: 32
    .workgroup_processor_mode: 1
amdhsa.target:   amdgcn-amd-amdhsa--gfx1100
amdhsa.version:
  - 1
  - 2
...

	.end_amdgpu_metadata
	.section	.debug_line,"",@progbits
.Lline_table_start0:
